;; amdgpu-corpus repo=ROCm/rocFFT kind=compiled arch=gfx950 opt=O3
	.text
	.amdgcn_target "amdgcn-amd-amdhsa--gfx950"
	.amdhsa_code_object_version 6
	.protected	fft_rtc_fwd_len1638_factors_13_2_3_7_3_wgs_182_tpt_182_halfLds_dp_op_CI_CI_unitstride_sbrr_R2C_dirReg ; -- Begin function fft_rtc_fwd_len1638_factors_13_2_3_7_3_wgs_182_tpt_182_halfLds_dp_op_CI_CI_unitstride_sbrr_R2C_dirReg
	.globl	fft_rtc_fwd_len1638_factors_13_2_3_7_3_wgs_182_tpt_182_halfLds_dp_op_CI_CI_unitstride_sbrr_R2C_dirReg
	.p2align	8
	.type	fft_rtc_fwd_len1638_factors_13_2_3_7_3_wgs_182_tpt_182_halfLds_dp_op_CI_CI_unitstride_sbrr_R2C_dirReg,@function
fft_rtc_fwd_len1638_factors_13_2_3_7_3_wgs_182_tpt_182_halfLds_dp_op_CI_CI_unitstride_sbrr_R2C_dirReg: ; @fft_rtc_fwd_len1638_factors_13_2_3_7_3_wgs_182_tpt_182_halfLds_dp_op_CI_CI_unitstride_sbrr_R2C_dirReg
; %bb.0:
	s_load_dwordx4 s[4:7], s[0:1], 0x58
	s_load_dwordx4 s[8:11], s[0:1], 0x0
	;; [unrolled: 1-line block ×3, first 2 shown]
	v_mul_u32_u24_e32 v1, 0x169, v0
	v_add_u32_sdwa v6, s2, v1 dst_sel:DWORD dst_unused:UNUSED_PAD src0_sel:DWORD src1_sel:WORD_1
	v_mov_b32_e32 v4, 0
	s_waitcnt lgkmcnt(0)
	v_cmp_lt_u64_e64 s[2:3], s[10:11], 2
	v_mov_b32_e32 v7, v4
	s_and_b64 vcc, exec, s[2:3]
	v_mov_b64_e32 v[2:3], 0
	s_cbranch_vccnz .LBB0_8
; %bb.1:
	s_load_dwordx2 s[2:3], s[0:1], 0x10
	s_add_u32 s16, s14, 8
	s_addc_u32 s17, s15, 0
	s_add_u32 s18, s12, 8
	s_addc_u32 s19, s13, 0
	s_waitcnt lgkmcnt(0)
	s_add_u32 s20, s2, 8
	v_mov_b64_e32 v[2:3], 0
	s_addc_u32 s21, s3, 0
	s_mov_b64 s[22:23], 1
	v_mov_b64_e32 v[80:81], v[2:3]
.LBB0_2:                                ; =>This Inner Loop Header: Depth=1
	s_load_dwordx2 s[24:25], s[20:21], 0x0
                                        ; implicit-def: $vgpr82_vgpr83
	s_waitcnt lgkmcnt(0)
	v_or_b32_e32 v5, s25, v7
	v_cmp_ne_u64_e32 vcc, 0, v[4:5]
	s_and_saveexec_b64 s[2:3], vcc
	s_xor_b64 s[26:27], exec, s[2:3]
	s_cbranch_execz .LBB0_4
; %bb.3:                                ;   in Loop: Header=BB0_2 Depth=1
	v_cvt_f32_u32_e32 v1, s24
	v_cvt_f32_u32_e32 v5, s25
	s_sub_u32 s2, 0, s24
	s_subb_u32 s3, 0, s25
	v_fmac_f32_e32 v1, 0x4f800000, v5
	v_rcp_f32_e32 v1, v1
	s_nop 0
	v_mul_f32_e32 v1, 0x5f7ffffc, v1
	v_mul_f32_e32 v5, 0x2f800000, v1
	v_trunc_f32_e32 v5, v5
	v_fmac_f32_e32 v1, 0xcf800000, v5
	v_cvt_u32_f32_e32 v5, v5
	v_cvt_u32_f32_e32 v1, v1
	v_mul_lo_u32 v8, s2, v5
	v_mul_hi_u32 v10, s2, v1
	v_mul_lo_u32 v9, s3, v1
	v_add_u32_e32 v10, v10, v8
	v_mul_lo_u32 v12, s2, v1
	v_add_u32_e32 v13, v10, v9
	v_mul_hi_u32 v8, v1, v12
	v_mul_hi_u32 v11, v1, v13
	v_mul_lo_u32 v10, v1, v13
	v_mov_b32_e32 v9, v4
	v_lshl_add_u64 v[8:9], v[8:9], 0, v[10:11]
	v_mul_hi_u32 v11, v5, v12
	v_mul_lo_u32 v12, v5, v12
	v_add_co_u32_e32 v8, vcc, v8, v12
	v_mul_hi_u32 v10, v5, v13
	s_nop 0
	v_addc_co_u32_e32 v8, vcc, v9, v11, vcc
	v_mov_b32_e32 v9, v4
	s_nop 0
	v_addc_co_u32_e32 v11, vcc, 0, v10, vcc
	v_mul_lo_u32 v10, v5, v13
	v_lshl_add_u64 v[8:9], v[8:9], 0, v[10:11]
	v_add_co_u32_e32 v1, vcc, v1, v8
	v_mul_lo_u32 v10, s2, v1
	s_nop 0
	v_addc_co_u32_e32 v5, vcc, v5, v9, vcc
	v_mul_lo_u32 v8, s2, v5
	v_mul_hi_u32 v9, s2, v1
	v_add_u32_e32 v8, v9, v8
	v_mul_lo_u32 v9, s3, v1
	v_add_u32_e32 v12, v8, v9
	v_mul_hi_u32 v14, v5, v10
	v_mul_lo_u32 v15, v5, v10
	v_mul_hi_u32 v9, v1, v12
	v_mul_lo_u32 v8, v1, v12
	v_mul_hi_u32 v10, v1, v10
	v_mov_b32_e32 v11, v4
	v_lshl_add_u64 v[8:9], v[10:11], 0, v[8:9]
	v_add_co_u32_e32 v8, vcc, v8, v15
	v_mul_hi_u32 v13, v5, v12
	s_nop 0
	v_addc_co_u32_e32 v8, vcc, v9, v14, vcc
	v_mul_lo_u32 v10, v5, v12
	s_nop 0
	v_addc_co_u32_e32 v11, vcc, 0, v13, vcc
	v_mov_b32_e32 v9, v4
	v_lshl_add_u64 v[8:9], v[8:9], 0, v[10:11]
	v_add_co_u32_e32 v1, vcc, v1, v8
	v_mul_hi_u32 v10, v6, v1
	s_nop 0
	v_addc_co_u32_e32 v5, vcc, v5, v9, vcc
	v_mad_u64_u32 v[8:9], s[2:3], v6, v5, 0
	v_mov_b32_e32 v11, v4
	v_lshl_add_u64 v[8:9], v[10:11], 0, v[8:9]
	v_mad_u64_u32 v[12:13], s[2:3], v7, v1, 0
	v_add_co_u32_e32 v1, vcc, v8, v12
	v_mad_u64_u32 v[10:11], s[2:3], v7, v5, 0
	s_nop 0
	v_addc_co_u32_e32 v8, vcc, v9, v13, vcc
	v_mov_b32_e32 v9, v4
	s_nop 0
	v_addc_co_u32_e32 v11, vcc, 0, v11, vcc
	v_lshl_add_u64 v[8:9], v[8:9], 0, v[10:11]
	v_mul_lo_u32 v1, s25, v8
	v_mul_lo_u32 v5, s24, v9
	v_mad_u64_u32 v[10:11], s[2:3], s24, v8, 0
	v_add3_u32 v1, v11, v5, v1
	v_sub_u32_e32 v5, v7, v1
	v_mov_b32_e32 v11, s25
	v_sub_co_u32_e32 v14, vcc, v6, v10
	v_lshl_add_u64 v[12:13], v[8:9], 0, 1
	s_nop 0
	v_subb_co_u32_e64 v5, s[2:3], v5, v11, vcc
	v_subrev_co_u32_e64 v10, s[2:3], s24, v14
	v_subb_co_u32_e32 v1, vcc, v7, v1, vcc
	s_nop 0
	v_subbrev_co_u32_e64 v5, s[2:3], 0, v5, s[2:3]
	v_cmp_le_u32_e64 s[2:3], s25, v5
	v_cmp_le_u32_e32 vcc, s25, v1
	s_nop 0
	v_cndmask_b32_e64 v11, 0, -1, s[2:3]
	v_cmp_le_u32_e64 s[2:3], s24, v10
	s_nop 1
	v_cndmask_b32_e64 v10, 0, -1, s[2:3]
	v_cmp_eq_u32_e64 s[2:3], s25, v5
	s_nop 1
	v_cndmask_b32_e64 v5, v11, v10, s[2:3]
	v_lshl_add_u64 v[10:11], v[8:9], 0, 2
	v_cmp_ne_u32_e64 s[2:3], 0, v5
	s_nop 1
	v_cndmask_b32_e64 v5, v13, v11, s[2:3]
	v_cndmask_b32_e64 v11, 0, -1, vcc
	v_cmp_le_u32_e32 vcc, s24, v14
	s_nop 1
	v_cndmask_b32_e64 v13, 0, -1, vcc
	v_cmp_eq_u32_e32 vcc, s25, v1
	s_nop 1
	v_cndmask_b32_e32 v1, v11, v13, vcc
	v_cmp_ne_u32_e32 vcc, 0, v1
	v_cndmask_b32_e64 v1, v12, v10, s[2:3]
	s_nop 0
	v_cndmask_b32_e32 v83, v9, v5, vcc
	v_cndmask_b32_e32 v82, v8, v1, vcc
.LBB0_4:                                ;   in Loop: Header=BB0_2 Depth=1
	s_andn2_saveexec_b64 s[2:3], s[26:27]
	s_cbranch_execz .LBB0_6
; %bb.5:                                ;   in Loop: Header=BB0_2 Depth=1
	v_cvt_f32_u32_e32 v1, s24
	s_sub_i32 s26, 0, s24
	v_mov_b32_e32 v83, v4
	v_rcp_iflag_f32_e32 v1, v1
	s_nop 0
	v_mul_f32_e32 v1, 0x4f7ffffe, v1
	v_cvt_u32_f32_e32 v1, v1
	v_mul_lo_u32 v5, s26, v1
	v_mul_hi_u32 v5, v1, v5
	v_add_u32_e32 v1, v1, v5
	v_mul_hi_u32 v1, v6, v1
	v_mul_lo_u32 v5, v1, s24
	v_sub_u32_e32 v5, v6, v5
	v_add_u32_e32 v8, 1, v1
	v_subrev_u32_e32 v9, s24, v5
	v_cmp_le_u32_e32 vcc, s24, v5
	s_nop 1
	v_cndmask_b32_e32 v5, v5, v9, vcc
	v_cndmask_b32_e32 v1, v1, v8, vcc
	v_add_u32_e32 v8, 1, v1
	v_cmp_le_u32_e32 vcc, s24, v5
	s_nop 1
	v_cndmask_b32_e32 v82, v1, v8, vcc
.LBB0_6:                                ;   in Loop: Header=BB0_2 Depth=1
	s_or_b64 exec, exec, s[2:3]
	v_mad_u64_u32 v[8:9], s[2:3], v82, s24, 0
	s_load_dwordx2 s[2:3], s[18:19], 0x0
	v_mul_lo_u32 v1, v83, s24
	v_mul_lo_u32 v5, v82, s25
	s_load_dwordx2 s[24:25], s[16:17], 0x0
	s_add_u32 s22, s22, 1
	v_add3_u32 v1, v9, v5, v1
	v_sub_co_u32_e32 v5, vcc, v6, v8
	s_addc_u32 s23, s23, 0
	s_nop 0
	v_subb_co_u32_e32 v1, vcc, v7, v1, vcc
	s_add_u32 s16, s16, 8
	s_waitcnt lgkmcnt(0)
	v_mul_lo_u32 v6, s2, v1
	v_mul_lo_u32 v7, s3, v5
	v_mad_u64_u32 v[2:3], s[2:3], s2, v5, v[2:3]
	s_addc_u32 s17, s17, 0
	v_add3_u32 v3, v7, v3, v6
	v_mul_lo_u32 v1, s24, v1
	v_mul_lo_u32 v6, s25, v5
	v_mad_u64_u32 v[80:81], s[2:3], s24, v5, v[80:81]
	s_add_u32 s18, s18, 8
	v_add3_u32 v81, v6, v81, v1
	s_addc_u32 s19, s19, 0
	v_mov_b64_e32 v[6:7], s[10:11]
	s_add_u32 s20, s20, 8
	v_cmp_ge_u64_e32 vcc, s[22:23], v[6:7]
	s_addc_u32 s21, s21, 0
	s_cbranch_vccnz .LBB0_9
; %bb.7:                                ;   in Loop: Header=BB0_2 Depth=1
	v_mov_b64_e32 v[6:7], v[82:83]
	s_branch .LBB0_2
.LBB0_8:
	v_mov_b64_e32 v[80:81], v[2:3]
	v_mov_b64_e32 v[82:83], v[6:7]
.LBB0_9:
	s_load_dwordx2 s[18:19], s[0:1], 0x28
	s_lshl_b64 s[16:17], s[10:11], 3
	s_add_u32 s2, s14, s16
	s_addc_u32 s3, s15, s17
                                        ; implicit-def: $vgpr84
	s_waitcnt lgkmcnt(0)
	v_cmp_gt_u64_e64 s[0:1], s[18:19], v[82:83]
	v_cmp_le_u64_e32 vcc, s[18:19], v[82:83]
	s_and_saveexec_b64 s[10:11], vcc
	s_xor_b64 s[10:11], exec, s[10:11]
; %bb.10:
	s_mov_b32 s14, 0x1681682
	v_mul_hi_u32 v1, v0, s14
	v_mul_u32_u24_e32 v1, 0xb6, v1
	v_sub_u32_e32 v84, v0, v1
                                        ; implicit-def: $vgpr0
                                        ; implicit-def: $vgpr2_vgpr3
; %bb.11:
	s_andn2_saveexec_b64 s[10:11], s[10:11]
	s_cbranch_execz .LBB0_13
; %bb.12:
	s_add_u32 s12, s12, s16
	s_addc_u32 s13, s13, s17
	s_load_dwordx2 s[12:13], s[12:13], 0x0
	s_mov_b32 s14, 0x1681682
	v_mov_b32_e32 v37, 0
	s_waitcnt lgkmcnt(0)
	v_mul_lo_u32 v1, s13, v82
	v_mul_lo_u32 v6, s12, v83
	v_mad_u64_u32 v[4:5], s[12:13], s12, v82, 0
	v_add3_u32 v5, v5, v6, v1
	v_mul_hi_u32 v1, v0, s14
	v_mul_u32_u24_e32 v1, 0xb6, v1
	v_sub_u32_e32 v84, v0, v1
	v_lshl_add_u64 v[0:1], v[4:5], 4, s[4:5]
	v_lshl_add_u64 v[0:1], v[2:3], 4, v[0:1]
	v_lshlrev_b32_e32 v36, 4, v84
	v_lshl_add_u64 v[32:33], v[0:1], 0, v[36:37]
	s_movk_i32 s4, 0x1000
	v_add_co_u32_e32 v16, vcc, s4, v32
	s_movk_i32 s4, 0x2000
	s_nop 0
	v_addc_co_u32_e32 v17, vcc, 0, v33, vcc
	v_add_co_u32_e32 v24, vcc, s4, v32
	s_movk_i32 s4, 0x3000
	s_nop 0
	v_addc_co_u32_e32 v25, vcc, 0, v33, vcc
	v_add_co_u32_e32 v26, vcc, s4, v32
	global_load_dwordx4 v[0:3], v[32:33], off
	global_load_dwordx4 v[4:7], v[32:33], off offset:2912
	v_addc_co_u32_e32 v27, vcc, 0, v33, vcc
	v_add_co_u32_e32 v34, vcc, 0x4000, v32
	global_load_dwordx4 v[8:11], v[16:17], off offset:1728
	global_load_dwordx4 v[12:15], v[24:25], off offset:544
	v_addc_co_u32_e32 v35, vcc, 0, v33, vcc
	global_load_dwordx4 v[16:19], v[24:25], off offset:3456
	global_load_dwordx4 v[20:23], v[26:27], off offset:2272
	s_nop 0
	global_load_dwordx4 v[24:27], v[34:35], off offset:1088
	global_load_dwordx4 v[28:31], v[34:35], off offset:4000
	v_add_co_u32_e32 v32, vcc, 0x5000, v32
	v_add_u32_e32 v36, 0, v36
	s_nop 0
	v_addc_co_u32_e32 v33, vcc, 0, v33, vcc
	global_load_dwordx4 v[32:35], v[32:33], off offset:2816
	s_waitcnt vmcnt(8)
	ds_write_b128 v36, v[0:3]
	s_waitcnt vmcnt(7)
	ds_write_b128 v36, v[4:7] offset:2912
	s_waitcnt vmcnt(6)
	ds_write_b128 v36, v[8:11] offset:5824
	;; [unrolled: 2-line block ×8, first 2 shown]
.LBB0_13:
	s_or_b64 exec, exec, s[10:11]
	v_lshl_add_u32 v246, v84, 4, 0
	s_waitcnt lgkmcnt(0)
	s_barrier
	ds_read_b128 v[12:15], v246 offset:24192
	ds_read_b128 v[20:23], v246 offset:2016
	ds_read_b128 v[24:27], v246
	ds_read_b128 v[28:31], v246 offset:4032
	ds_read_b128 v[32:35], v246 offset:6048
	;; [unrolled: 1-line block ×4, first 2 shown]
	s_mov_b32 s26, 0x4267c47c
	s_waitcnt lgkmcnt(5)
	v_add_f64 v[72:73], v[22:23], -v[14:15]
	s_mov_b32 s4, 0xe00740e9
	s_mov_b32 s27, 0xbfddbe06
	;; [unrolled: 1-line block ×3, first 2 shown]
	ds_read_b128 v[48:51], v246 offset:18144
	ds_read_b128 v[52:55], v246 offset:8064
	v_add_f64 v[76:77], v[20:21], v[12:13]
	v_add_f64 v[108:109], v[20:21], -v[12:13]
	s_mov_b32 s5, 0x3fec55a7
	v_mul_f64 v[86:87], v[72:73], s[26:27]
	s_mov_b32 s10, 0x1ea71119
	s_mov_b32 s23, 0xbfea55e2
	s_waitcnt lgkmcnt(3)
	v_add_f64 v[74:75], v[30:31], -v[42:43]
	v_add_f64 v[78:79], v[22:23], v[14:15]
	v_mul_f64 v[88:89], v[108:109], s[26:27]
	v_fma_f64 v[0:1], s[4:5], v[76:77], v[86:87]
	s_mov_b32 s11, 0x3fe22d96
	v_add_f64 v[110:111], v[28:29], v[40:41]
	v_add_f64 v[160:161], v[28:29], -v[40:41]
	v_mul_f64 v[90:91], v[74:75], s[22:23]
	s_mov_b32 s24, 0x66966769
	ds_read_b128 v[56:59], v246 offset:10080
	ds_read_b128 v[60:63], v246 offset:16128
	v_add_f64 v[0:1], v[24:25], v[0:1]
	v_fma_f64 v[2:3], v[78:79], s[4:5], -v[88:89]
	v_add_f64 v[114:115], v[30:31], v[42:43]
	v_mul_f64 v[92:93], v[160:161], s[22:23]
	v_fma_f64 v[4:5], s[10:11], v[110:111], v[90:91]
	s_mov_b32 s12, 0xebaa3ed8
	s_mov_b32 s25, 0xbfefc445
	s_waitcnt lgkmcnt(4)
	v_add_f64 v[188:189], v[34:35], -v[46:47]
	v_add_f64 v[2:3], v[26:27], v[2:3]
	v_add_f64 v[0:1], v[4:5], v[0:1]
	v_fma_f64 v[4:5], v[114:115], s[10:11], -v[92:93]
	s_mov_b32 s13, 0x3fbedb7d
	v_add_f64 v[116:117], v[32:33], v[44:45]
	v_mul_f64 v[94:95], v[188:189], s[24:25]
	v_add_f64 v[182:183], v[32:33], -v[44:45]
	s_mov_b32 s28, 0x2ef20147
	ds_read_b128 v[64:67], v246 offset:12096
	ds_read_b128 v[68:71], v246 offset:14112
	v_add_f64 v[2:3], v[4:5], v[2:3]
	v_fma_f64 v[4:5], s[12:13], v[116:117], v[94:95]
	v_add_f64 v[122:123], v[34:35], v[46:47]
	v_mul_f64 v[96:97], v[182:183], s[24:25]
	s_mov_b32 s16, 0xb2365da1
	s_mov_b32 s29, 0xbfedeba7
	s_waitcnt lgkmcnt(4)
	v_add_f64 v[204:205], v[54:55], -v[50:51]
	v_add_f64 v[0:1], v[4:5], v[0:1]
	v_fma_f64 v[4:5], v[122:123], s[12:13], -v[96:97]
	s_mov_b32 s17, 0xbfd6b1d8
	v_add_f64 v[132:133], v[52:53], v[48:49]
	v_mul_f64 v[98:99], v[204:205], s[28:29]
	v_add_f64 v[200:201], v[52:53], -v[48:49]
	s_mov_b32 s30, 0x24c2f84
	v_add_f64 v[2:3], v[4:5], v[2:3]
	v_fma_f64 v[4:5], s[16:17], v[132:133], v[98:99]
	v_add_f64 v[138:139], v[54:55], v[50:51]
	v_mul_f64 v[100:101], v[200:201], s[28:29]
	s_mov_b32 s14, 0xd0032e0c
	s_mov_b32 s31, 0xbfe5384d
	s_waitcnt lgkmcnt(2)
	v_add_f64 v[216:217], v[58:59], -v[62:63]
	v_add_f64 v[0:1], v[4:5], v[0:1]
	v_fma_f64 v[4:5], v[138:139], s[16:17], -v[100:101]
	s_mov_b32 s15, 0xbfe7f3cc
	v_add_f64 v[142:143], v[56:57], v[60:61]
	v_mul_f64 v[102:103], v[216:217], s[30:31]
	v_add_f64 v[212:213], v[56:57], -v[60:61]
	s_mov_b32 s34, 0x4bc48dbf
	v_add_f64 v[2:3], v[4:5], v[2:3]
	v_fma_f64 v[4:5], s[14:15], v[142:143], v[102:103]
	v_add_f64 v[148:149], v[58:59], v[62:63]
	v_mul_f64 v[104:105], v[212:213], s[30:31]
	s_mov_b32 s20, 0x93053d00
	s_mov_b32 s35, 0xbfcea1e5
	s_waitcnt lgkmcnt(0)
	v_add_f64 v[222:223], v[66:67], -v[70:71]
	v_add_f64 v[0:1], v[4:5], v[0:1]
	v_fma_f64 v[4:5], v[148:149], s[14:15], -v[104:105]
	s_mov_b32 s21, 0xbfef11f4
	v_add_f64 v[150:151], v[64:65], v[68:69]
	v_mul_f64 v[106:107], v[222:223], s[34:35]
	v_add_f64 v[220:221], v[64:65], -v[68:69]
	v_add_f64 v[2:3], v[4:5], v[2:3]
	v_fma_f64 v[4:5], s[20:21], v[150:151], v[106:107]
	v_add_f64 v[154:155], v[66:67], v[70:71]
	v_mul_f64 v[112:113], v[220:221], s[34:35]
	v_add_f64 v[0:1], v[4:5], v[0:1]
	v_fma_f64 v[4:5], v[154:155], s[20:21], -v[112:113]
	v_mul_f64 v[118:119], v[72:73], s[22:23]
	v_add_f64 v[2:3], v[4:5], v[2:3]
	v_fma_f64 v[4:5], s[10:11], v[76:77], v[118:119]
	v_mul_f64 v[120:121], v[74:75], s[28:29]
	v_add_f64 v[4:5], v[24:25], v[4:5]
	v_fma_f64 v[6:7], s[16:17], v[110:111], v[120:121]
	v_mul_f64 v[126:127], v[108:109], s[22:23]
	v_add_f64 v[4:5], v[6:7], v[4:5]
	v_fma_f64 v[6:7], v[78:79], s[10:11], -v[126:127]
	v_mul_f64 v[130:131], v[160:161], s[28:29]
	v_add_f64 v[6:7], v[26:27], v[6:7]
	v_fma_f64 v[8:9], v[114:115], s[16:17], -v[130:131]
	v_mul_f64 v[124:125], v[188:189], s[34:35]
	v_add_f64 v[6:7], v[8:9], v[6:7]
	v_fma_f64 v[8:9], s[20:21], v[116:117], v[124:125]
	v_mul_f64 v[134:135], v[182:183], s[34:35]
	s_mov_b32 s41, 0x3fe5384d
	s_mov_b32 s40, s30
	v_add_f64 v[4:5], v[8:9], v[4:5]
	v_fma_f64 v[8:9], v[122:123], s[20:21], -v[134:135]
	v_mul_f64 v[128:129], v[204:205], s[40:41]
	v_add_f64 v[6:7], v[8:9], v[6:7]
	v_fma_f64 v[8:9], s[14:15], v[132:133], v[128:129]
	v_mul_f64 v[140:141], v[200:201], s[40:41]
	s_mov_b32 s37, 0x3fefc445
	s_mov_b32 s36, s24
	;; [unrolled: 8-line block ×3, first 2 shown]
	v_add_f64 v[4:5], v[8:9], v[4:5]
	v_fma_f64 v[8:9], v[148:149], s[12:13], -v[146:147]
	v_mul_f64 v[144:145], v[222:223], s[38:39]
	v_add_f64 v[6:7], v[8:9], v[6:7]
	v_fma_f64 v[8:9], s[4:5], v[150:151], v[144:145]
	v_mul_f64 v[152:153], v[220:221], s[38:39]
	v_add_f64 v[4:5], v[8:9], v[4:5]
	v_fma_f64 v[8:9], v[154:155], s[4:5], -v[152:153]
	v_mul_f64 v[156:157], v[72:73], s[24:25]
	v_add_f64 v[6:7], v[8:9], v[6:7]
	v_fma_f64 v[8:9], s[12:13], v[76:77], v[156:157]
	v_mul_f64 v[158:159], v[74:75], s[34:35]
	v_add_f64 v[8:9], v[24:25], v[8:9]
	v_fma_f64 v[10:11], s[20:21], v[110:111], v[158:159]
	v_mul_f64 v[164:165], v[108:109], s[24:25]
	v_add_f64 v[8:9], v[10:11], v[8:9]
	v_fma_f64 v[10:11], v[78:79], s[12:13], -v[164:165]
	v_mul_f64 v[168:169], v[160:161], s[34:35]
	s_mov_b32 s43, 0x3fedeba7
	s_mov_b32 s42, s28
	v_add_f64 v[10:11], v[26:27], v[10:11]
	v_fma_f64 v[16:17], v[114:115], s[20:21], -v[168:169]
	v_mul_f64 v[162:163], v[188:189], s[42:43]
	v_add_f64 v[10:11], v[16:17], v[10:11]
	v_fma_f64 v[16:17], s[16:17], v[116:117], v[162:163]
	v_mul_f64 v[172:173], v[182:183], s[42:43]
	v_add_f64 v[8:9], v[16:17], v[8:9]
	v_fma_f64 v[16:17], v[122:123], s[16:17], -v[172:173]
	v_mul_f64 v[166:167], v[204:205], s[38:39]
	v_add_f64 v[10:11], v[16:17], v[10:11]
	v_fma_f64 v[16:17], s[4:5], v[132:133], v[166:167]
	v_mul_f64 v[176:177], v[200:201], s[38:39]
	;; [unrolled: 6-line block ×5, first 2 shown]
	v_add_f64 v[16:17], v[24:25], v[16:17]
	v_fma_f64 v[18:19], s[14:15], v[110:111], v[186:187]
	v_mul_f64 v[196:197], v[108:109], s[28:29]
	v_add_f64 v[16:17], v[18:19], v[16:17]
	v_fma_f64 v[18:19], v[78:79], s[16:17], -v[196:197]
	v_mul_f64 v[202:203], v[160:161], s[40:41]
	v_add_f64 v[18:19], v[26:27], v[18:19]
	v_fma_f64 v[36:37], v[114:115], s[14:15], -v[202:203]
	v_mul_f64 v[190:191], v[188:189], s[38:39]
	v_add_f64 v[18:19], v[36:37], v[18:19]
	v_fma_f64 v[36:37], s[4:5], v[116:117], v[190:191]
	v_mul_f64 v[206:207], v[182:183], s[38:39]
	v_add_f64 v[16:17], v[36:37], v[16:17]
	v_fma_f64 v[36:37], v[122:123], s[4:5], -v[206:207]
	v_mul_f64 v[192:193], v[204:205], s[24:25]
	v_add_f64 v[18:19], v[36:37], v[18:19]
	v_fma_f64 v[36:37], s[12:13], v[132:133], v[192:193]
	v_mul_f64 v[208:209], v[200:201], s[24:25]
	s_mov_b32 s47, 0x3fcea1e5
	s_mov_b32 s46, s34
	v_add_f64 v[16:17], v[36:37], v[16:17]
	v_fma_f64 v[36:37], v[138:139], s[12:13], -v[208:209]
	v_mul_f64 v[194:195], v[216:217], s[46:47]
	v_add_f64 v[18:19], v[36:37], v[18:19]
	v_fma_f64 v[36:37], s[20:21], v[142:143], v[194:195]
	v_mul_f64 v[210:211], v[212:213], s[46:47]
	s_mov_b32 s45, 0x3fea55e2
	s_mov_b32 s44, s22
	v_add_f64 v[16:17], v[36:37], v[16:17]
	v_fma_f64 v[36:37], v[148:149], s[20:21], -v[210:211]
	v_mul_f64 v[198:199], v[222:223], s[44:45]
	v_add_f64 v[18:19], v[36:37], v[18:19]
	v_fma_f64 v[36:37], s[10:11], v[150:151], v[198:199]
	v_mul_f64 v[214:215], v[220:221], s[44:45]
	v_add_f64 v[36:37], v[36:37], v[16:17]
	v_fma_f64 v[16:17], v[154:155], s[10:11], -v[214:215]
	v_mul_f64 v[218:219], v[72:73], s[30:31]
	v_add_f64 v[38:39], v[16:17], v[18:19]
	v_fma_f64 v[16:17], s[14:15], v[76:77], v[218:219]
	v_mul_f64 v[224:225], v[74:75], s[36:37]
	v_add_f64 v[16:17], v[24:25], v[16:17]
	v_fma_f64 v[18:19], s[12:13], v[110:111], v[224:225]
	v_mul_f64 v[234:235], v[108:109], s[30:31]
	v_add_f64 v[16:17], v[18:19], v[16:17]
	v_fma_f64 v[18:19], v[78:79], s[14:15], -v[234:235]
	v_mul_f64 v[236:237], v[160:161], s[36:37]
	v_add_f64 v[18:19], v[26:27], v[18:19]
	v_fma_f64 v[226:227], v[114:115], s[12:13], -v[236:237]
	v_add_f64 v[18:19], v[226:227], v[18:19]
	v_mul_f64 v[226:227], v[188:189], s[22:23]
	v_fma_f64 v[228:229], s[10:11], v[116:117], v[226:227]
	v_mul_f64 v[238:239], v[182:183], s[22:23]
	v_add_f64 v[16:17], v[228:229], v[16:17]
	v_fma_f64 v[228:229], v[122:123], s[10:11], -v[238:239]
	v_add_f64 v[18:19], v[228:229], v[18:19]
	v_mul_f64 v[228:229], v[204:205], s[46:47]
	v_fma_f64 v[230:231], s[20:21], v[132:133], v[228:229]
	;; [unrolled: 6-line block ×4, first 2 shown]
	v_add_f64 v[16:17], v[244:245], v[16:17]
	v_mul_f64 v[244:245], v[220:221], s[28:29]
	v_fma_f64 v[248:249], v[154:155], s[16:17], -v[244:245]
	s_movk_i32 s18, 0x7e
	v_add_f64 v[18:19], v[248:249], v[18:19]
	v_cmp_gt_u32_e32 vcc, s18, v84
	s_barrier
	s_and_saveexec_b64 s[18:19], vcc
	s_cbranch_execz .LBB0_15
; %bb.14:
	v_mul_f64 v[252:253], v[78:79], s[20:21]
	v_mul_f64 v[248:249], v[114:115], s[4:5]
	v_fma_f64 v[254:255], s[46:47], v[108:109], v[252:253]
	v_fma_f64 v[250:251], s[26:27], v[160:161], v[248:249]
	v_add_f64 v[254:255], v[26:27], v[254:255]
	v_add_f64 v[250:251], v[250:251], v[254:255]
	v_mul_f64 v[254:255], v[122:123], s[14:15]
	v_accvgpr_write_b32 a0, v86
	v_accvgpr_write_b32 a1, v87
	v_fma_f64 v[86:87], s[40:41], v[182:183], v[254:255]
	v_add_f64 v[86:87], v[86:87], v[250:251]
	v_mul_f64 v[250:251], v[138:139], s[10:11]
	v_accvgpr_write_b32 a4, v88
	v_accvgpr_write_b32 a5, v89
	v_fma_f64 v[88:89], s[22:23], v[200:201], v[250:251]
	v_add_f64 v[86:87], v[88:89], v[86:87]
	v_mul_f64 v[88:89], v[148:149], s[16:17]
	v_accvgpr_write_b32 a2, v90
	v_accvgpr_write_b32 a6, v92
	;; [unrolled: 1-line block ×3, first 2 shown]
	v_fma_f64 v[90:91], s[42:43], v[212:213], v[88:89]
	v_accvgpr_write_b32 a7, v93
	v_mul_f64 v[92:93], v[72:73], s[34:35]
	v_add_f64 v[86:87], v[90:91], v[86:87]
	v_mul_f64 v[90:91], v[74:75], s[38:39]
	v_fma_f64 v[72:73], s[20:21], v[76:77], v[92:93]
	v_add_f64 v[72:73], v[24:25], v[72:73]
	v_fma_f64 v[74:75], s[4:5], v[110:111], v[90:91]
	v_mul_f64 v[188:189], v[188:189], s[30:31]
	v_add_f64 v[72:73], v[74:75], v[72:73]
	v_fma_f64 v[74:75], s[14:15], v[116:117], v[188:189]
	v_mul_f64 v[204:205], v[204:205], s[44:45]
	;; [unrolled: 3-line block ×3, first 2 shown]
	v_accvgpr_write_b32 a8, v94
	v_fmac_f64_e32 v[252:253], s[34:35], v[108:109]
	v_add_f64 v[72:73], v[74:75], v[72:73]
	v_fma_f64 v[74:75], s[16:17], v[142:143], v[216:217]
	v_accvgpr_write_b32 a9, v95
	v_mul_f64 v[94:95], v[154:155], s[12:13]
	v_fmac_f64_e32 v[254:255], s[30:31], v[182:183]
	v_fmac_f64_e32 v[248:249], s[38:39], v[160:161]
	v_add_f64 v[182:183], v[26:27], v[252:253]
	v_add_f64 v[72:73], v[74:75], v[72:73]
	v_fma_f64 v[74:75], s[24:25], v[220:221], v[94:95]
	v_fmac_f64_e32 v[250:251], s[44:45], v[200:201]
	v_add_f64 v[200:201], v[248:249], v[182:183]
	v_add_f64 v[74:75], v[74:75], v[86:87]
	v_mul_f64 v[86:87], v[222:223], s[36:37]
	v_fmac_f64_e32 v[88:89], s[28:29], v[212:213]
	v_add_f64 v[212:213], v[254:255], v[200:201]
	v_fma_f64 v[222:223], s[12:13], v[150:151], v[86:87]
	v_add_f64 v[212:213], v[250:251], v[212:213]
	v_fma_f64 v[92:93], v[76:77], s[20:21], -v[92:93]
	v_add_f64 v[72:73], v[222:223], v[72:73]
	v_mul_f64 v[108:109], v[78:79], s[4:5]
	v_mul_f64 v[200:201], v[78:79], s[10:11]
	v_add_f64 v[88:89], v[88:89], v[212:213]
	v_mul_f64 v[212:213], v[78:79], s[12:13]
	v_fma_f64 v[90:91], v[110:111], s[4:5], -v[90:91]
	v_add_f64 v[92:93], v[24:25], v[92:93]
	v_mul_f64 v[222:223], v[78:79], s[16:17]
	v_mul_f64 v[250:251], v[78:79], s[14:15]
	v_fma_f64 v[78:79], v[142:143], s[16:17], -v[216:217]
	v_mul_f64 v[216:217], v[122:123], s[10:11]
	v_add_f64 v[90:91], v[90:91], v[92:93]
	v_fma_f64 v[188:189], v[116:117], s[14:15], -v[188:189]
	v_add_f64 v[216:217], v[238:239], v[216:217]
	v_mul_f64 v[238:239], v[114:115], s[12:13]
	v_add_f64 v[234:235], v[234:235], v[250:251]
	v_fmac_f64_e32 v[94:95], s[36:37], v[220:221]
	v_mul_f64 v[160:161], v[76:77], s[4:5]
	v_mul_f64 v[182:183], v[76:77], s[10:11]
	;; [unrolled: 1-line block ×4, first 2 shown]
	v_add_f64 v[90:91], v[188:189], v[90:91]
	v_mul_f64 v[248:249], v[76:77], s[14:15]
	v_fma_f64 v[76:77], v[132:133], s[10:11], -v[204:205]
	v_add_f64 v[236:237], v[236:237], v[238:239]
	v_add_f64 v[234:235], v[26:27], v[234:235]
	;; [unrolled: 1-line block ×3, first 2 shown]
	v_mul_f64 v[204:205], v[138:139], s[20:21]
	v_add_f64 v[234:235], v[236:237], v[234:235]
	v_add_f64 v[76:77], v[78:79], v[76:77]
	;; [unrolled: 1-line block ×3, first 2 shown]
	v_mul_f64 v[94:95], v[148:149], s[4:5]
	v_add_f64 v[204:205], v[240:241], v[204:205]
	v_add_f64 v[216:217], v[216:217], v[234:235]
	v_mul_f64 v[90:91], v[114:115], s[10:11]
	v_fma_f64 v[86:87], v[150:151], s[12:13], -v[86:87]
	v_add_f64 v[94:95], v[242:243], v[94:95]
	v_mul_f64 v[238:239], v[114:115], s[16:17]
	v_mul_f64 v[236:237], v[114:115], s[20:21]
	;; [unrolled: 1-line block ×3, first 2 shown]
	v_add_f64 v[114:115], v[204:205], v[216:217]
	v_mul_f64 v[216:217], v[142:143], s[4:5]
	v_mul_f64 v[188:189], v[110:111], s[10:11]
	v_add_f64 v[76:77], v[86:87], v[76:77]
	v_mul_f64 v[86:87], v[110:111], s[16:17]
	v_mul_f64 v[240:241], v[110:111], s[20:21]
	;; [unrolled: 1-line block ×4, first 2 shown]
	v_add_f64 v[216:217], v[216:217], -v[230:231]
	v_mul_f64 v[230:231], v[132:133], s[20:21]
	v_add_f64 v[218:219], v[248:249], -v[218:219]
	v_add_f64 v[228:229], v[230:231], -v[228:229]
	v_mul_f64 v[230:231], v[116:117], s[10:11]
	v_add_f64 v[110:111], v[110:111], -v[224:225]
	v_add_f64 v[218:219], v[24:25], v[218:219]
	v_add_f64 v[226:227], v[230:231], -v[226:227]
	v_add_f64 v[110:111], v[110:111], v[218:219]
	v_add_f64 v[110:111], v[226:227], v[110:111]
	;; [unrolled: 1-line block ×3, first 2 shown]
	v_mul_f64 v[114:115], v[150:151], s[16:17]
	v_add_f64 v[110:111], v[228:229], v[110:111]
	v_add_f64 v[114:115], v[114:115], -v[232:233]
	v_add_f64 v[110:111], v[216:217], v[110:111]
	v_add_f64 v[196:197], v[196:197], v[222:223]
	v_mul_f64 v[230:231], v[122:123], s[12:13]
	v_mul_f64 v[232:233], v[122:123], s[20:21]
	;; [unrolled: 1-line block ×4, first 2 shown]
	v_add_f64 v[114:115], v[114:115], v[110:111]
	v_mul_f64 v[110:111], v[148:149], s[20:21]
	v_add_f64 v[202:203], v[202:203], v[242:243]
	v_add_f64 v[196:197], v[26:27], v[196:197]
	v_mul_f64 v[88:89], v[154:155], s[16:17]
	v_add_f64 v[110:111], v[210:211], v[110:111]
	v_mul_f64 v[210:211], v[138:139], s[12:13]
	v_add_f64 v[122:123], v[206:207], v[122:123]
	v_add_f64 v[196:197], v[202:203], v[196:197]
	;; [unrolled: 1-line block ×5, first 2 shown]
	v_mul_f64 v[204:205], v[116:117], s[12:13]
	v_mul_f64 v[224:225], v[116:117], s[20:21]
	;; [unrolled: 1-line block ×4, first 2 shown]
	v_add_f64 v[116:117], v[88:89], v[94:95]
	v_mul_f64 v[94:95], v[154:155], s[10:11]
	v_add_f64 v[122:123], v[208:209], v[122:123]
	v_mul_f64 v[228:229], v[132:133], s[16:17]
	v_mul_f64 v[88:89], v[132:133], s[14:15]
	v_add_f64 v[94:95], v[214:215], v[94:95]
	v_mul_f64 v[206:207], v[132:133], s[4:5]
	;; [unrolled: 3-line block ×3, first 2 shown]
	v_add_f64 v[92:93], v[92:93], -v[184:185]
	v_mul_f64 v[222:223], v[148:149], s[14:15]
	v_mul_f64 v[196:197], v[148:149], s[12:13]
	;; [unrolled: 1-line block ×3, first 2 shown]
	v_add_f64 v[122:123], v[122:123], -v[198:199]
	v_mul_f64 v[198:199], v[150:151], s[20:21]
	v_add_f64 v[132:133], v[132:133], -v[192:193]
	v_mul_f64 v[192:193], v[150:151], s[4:5]
	;; [unrolled: 2-line block ×3, first 2 shown]
	v_add_f64 v[150:151], v[94:95], v[110:111]
	v_add_f64 v[94:95], v[234:235], -v[186:187]
	v_add_f64 v[92:93], v[24:25], v[92:93]
	v_add_f64 v[92:93], v[94:95], v[92:93]
	v_mul_f64 v[216:217], v[138:139], s[16:17]
	v_mul_f64 v[210:211], v[138:139], s[14:15]
	;; [unrolled: 1-line block ×7, first 2 shown]
	v_add_f64 v[92:93], v[148:149], v[92:93]
	v_add_f64 v[142:143], v[142:143], -v[194:195]
	v_add_f64 v[92:93], v[132:133], v[92:93]
	v_add_f64 v[110:111], v[176:177], v[138:139]
	;; [unrolled: 1-line block ×9, first 2 shown]
	v_add_f64 v[138:139], v[220:221], -v[156:157]
	v_add_f64 v[122:123], v[122:123], v[132:133]
	v_add_f64 v[132:133], v[240:241], -v[158:159]
	v_add_f64 v[138:139], v[24:25], v[138:139]
	v_mul_f64 v[194:195], v[154:155], s[20:21]
	v_mul_f64 v[190:191], v[154:155], s[4:5]
	;; [unrolled: 1-line block ×3, first 2 shown]
	v_add_f64 v[94:95], v[178:179], v[242:243]
	v_add_f64 v[110:111], v[110:111], v[122:123]
	v_add_f64 v[122:123], v[218:219], -v[162:163]
	v_add_f64 v[132:133], v[132:133], v[138:139]
	v_add_f64 v[126:127], v[126:127], v[200:201]
	v_add_f64 v[92:93], v[180:181], v[154:155]
	v_add_f64 v[94:95], v[94:95], v[110:111]
	v_add_f64 v[110:111], v[206:207], -v[166:167]
	v_add_f64 v[122:123], v[122:123], v[132:133]
	v_add_f64 v[130:131], v[130:131], v[238:239]
	;; [unrolled: 5-line block ×3, first 2 shown]
	v_add_f64 v[126:127], v[130:131], v[126:127]
	v_add_f64 v[92:93], v[244:245], -v[174:175]
	v_add_f64 v[94:95], v[94:95], v[110:111]
	v_add_f64 v[110:111], v[140:141], v[210:211]
	v_add_f64 v[122:123], v[122:123], v[126:127]
	v_add_f64 v[118:119], v[182:183], -v[118:119]
	v_add_f64 v[162:163], v[92:93], v[94:95]
	v_add_f64 v[94:95], v[146:147], v[196:197]
	;; [unrolled: 4-line block ×3, first 2 shown]
	v_add_f64 v[110:111], v[224:225], -v[124:125]
	v_add_f64 v[86:87], v[86:87], v[118:119]
	v_add_f64 v[92:93], v[152:153], v[190:191]
	v_add_f64 v[88:89], v[88:89], -v[128:129]
	v_add_f64 v[86:87], v[110:111], v[86:87]
	v_add_f64 v[122:123], v[92:93], v[94:95]
	;; [unrolled: 3-line block ×3, first 2 shown]
	v_add_f64 v[94:95], v[96:97], v[230:231]
	v_accvgpr_read_b32 v97, a7
	v_accvgpr_read_b32 v96, a6
	v_add_f64 v[90:91], v[96:97], v[90:91]
	v_accvgpr_read_b32 v97, a5
	v_accvgpr_read_b32 v96, a4
	v_add_f64 v[96:97], v[96:97], v[108:109]
	v_add_f64 v[22:23], v[26:27], v[22:23]
	;; [unrolled: 1-line block ×6, first 2 shown]
	v_add_f64 v[92:93], v[192:193], -v[144:145]
	v_add_f64 v[90:91], v[90:91], v[96:97]
	v_add_f64 v[22:23], v[22:23], v[34:35]
	;; [unrolled: 1-line block ×9, first 2 shown]
	v_add_f64 v[92:93], v[228:229], -v[98:99]
	v_accvgpr_read_b32 v99, a1
	v_add_f64 v[22:23], v[22:23], v[58:59]
	v_add_f64 v[20:21], v[20:21], v[56:57]
	v_accvgpr_read_b32 v97, a3
	v_accvgpr_read_b32 v98, a0
	v_add_f64 v[22:23], v[22:23], v[66:67]
	v_add_f64 v[20:21], v[20:21], v[64:65]
	v_accvgpr_read_b32 v95, a9
	v_accvgpr_read_b32 v96, a2
	v_add_f64 v[98:99], v[160:161], -v[98:99]
	v_add_f64 v[22:23], v[22:23], v[70:71]
	v_add_f64 v[20:21], v[20:21], v[68:69]
	v_accvgpr_read_b32 v94, a8
	v_add_f64 v[96:97], v[188:189], -v[96:97]
	v_add_f64 v[98:99], v[24:25], v[98:99]
	v_add_f64 v[22:23], v[22:23], v[62:63]
	;; [unrolled: 1-line block ×3, first 2 shown]
	v_add_f64 v[94:95], v[204:205], -v[94:95]
	v_add_f64 v[96:97], v[96:97], v[98:99]
	v_add_f64 v[22:23], v[22:23], v[50:51]
	;; [unrolled: 1-line block ×9, first 2 shown]
	v_add_f64 v[90:91], v[214:215], -v[102:103]
	v_add_f64 v[92:93], v[92:93], v[94:95]
	v_add_f64 v[22:23], v[22:23], v[42:43]
	;; [unrolled: 1-line block ×3, first 2 shown]
	s_movk_i32 s4, 0xc0
	v_add_f64 v[88:89], v[86:87], v[88:89]
	v_add_f64 v[86:87], v[198:199], -v[106:107]
	v_add_f64 v[90:91], v[90:91], v[92:93]
	v_add_f64 v[14:15], v[22:23], v[14:15]
	;; [unrolled: 1-line block ×3, first 2 shown]
	v_mad_u32_u24 v20, v84, s4, v246
	v_add_f64 v[86:87], v[86:87], v[90:91]
	ds_write_b128 v20, v[12:15]
	ds_write_b128 v20, v[86:89] offset:16
	ds_write_b128 v20, v[120:123] offset:32
	;; [unrolled: 1-line block ×12, first 2 shown]
.LBB0_15:
	s_or_b64 exec, exec, s[18:19]
	v_add_u32_e32 v58, 0x16c, v84
	v_add_u32_e32 v56, 0x222, v84
	v_lshl_add_u32 v61, v58, 4, 0
	s_waitcnt lgkmcnt(0)
	s_barrier
	ds_read_b128 v[20:23], v246
	ds_read_b128 v[24:27], v246 offset:2912
	ds_read_b128 v[40:43], v246 offset:13104
	;; [unrolled: 1-line block ×3, first 2 shown]
	v_lshl_add_u32 v60, v56, 4, 0
	ds_read_b128 v[32:35], v61
	ds_read_b128 v[28:31], v60
	ds_read_b128 v[48:51], v246 offset:18928
	ds_read_b128 v[44:47], v246 offset:21840
	s_movk_i32 s4, 0x5b
	v_cmp_gt_u32_e32 vcc, s4, v84
	s_and_saveexec_b64 s[4:5], vcc
	s_cbranch_execz .LBB0_17
; %bb.16:
	ds_read_b128 v[16:19], v246 offset:11648
	ds_read_b128 v[36:39], v246 offset:24752
.LBB0_17:
	s_or_b64 exec, exec, s[4:5]
	s_movk_i32 s4, 0x4f
	v_mul_lo_u16_sdwa v55, v84, s4 dst_sel:DWORD dst_unused:UNUSED_PAD src0_sel:BYTE_0 src1_sel:DWORD
	v_add_u32_e32 v57, 0xb6, v84
	v_lshrrev_b16_e32 v63, 10, v55
	s_movk_i32 s4, 0x4ec5
	v_mul_lo_u16_e32 v52, 13, v63
	v_mul_u32_u24_sdwa v54, v57, s4 dst_sel:DWORD dst_unused:UNUSED_PAD src0_sel:WORD_0 src1_sel:DWORD
	v_sub_u16_e32 v53, v84, v52
	v_mov_b32_e32 v52, 4
	v_lshrrev_b32_e32 v90, 18, v54
	v_lshlrev_b32_sdwa v85, v52, v53 dst_sel:DWORD dst_unused:UNUSED_PAD src0_sel:DWORD src1_sel:BYTE_0
	v_mul_lo_u16_e32 v53, 13, v90
	v_sub_u16_e32 v53, v57, v53
	v_lshlrev_b32_e32 v91, 4, v53
	v_mul_u32_u24_sdwa v53, v58, s4 dst_sel:DWORD dst_unused:UNUSED_PAD src0_sel:WORD_0 src1_sel:DWORD
	v_lshrrev_b32_e32 v92, 18, v53
	v_mul_lo_u16_e32 v59, 13, v92
	v_sub_u16_e32 v59, v58, v59
	v_lshlrev_b32_e32 v93, 4, v59
	v_mul_u32_u24_sdwa v59, v56, s4 dst_sel:DWORD dst_unused:UNUSED_PAD src0_sel:WORD_0 src1_sel:DWORD
	v_lshrrev_b32_e32 v94, 18, v59
	v_mul_lo_u16_e32 v59, 13, v94
	v_add_u32_e32 v62, 0x2d8, v84
	v_sub_u16_e32 v59, v56, v59
	v_lshlrev_b32_e32 v100, 4, v59
	v_mul_u32_u24_sdwa v59, v62, s4 dst_sel:DWORD dst_unused:UNUSED_PAD src0_sel:WORD_0 src1_sel:DWORD
	v_lshrrev_b32_e32 v59, 18, v59
	v_mul_lo_u16_e32 v86, 13, v59
	v_sub_u16_e32 v62, v62, v86
	v_lshlrev_b32_e32 v62, 4, v62
	global_load_dwordx4 v[64:67], v85, s[8:9]
	global_load_dwordx4 v[68:71], v91, s[8:9]
	;; [unrolled: 1-line block ×5, first 2 shown]
	s_load_dwordx2 s[4:5], s[2:3], 0x0
	s_mov_b32 s3, 0x5040100
	s_movk_i32 s2, 0x1a0
	v_perm_b32 v92, v94, v92, s3
	v_mul_u32_u24_e32 v63, 0x1a0, v63
	v_mul_u32_u24_e32 v90, 0x1a0, v90
	v_pk_mul_lo_u16 v101, v92, s2 op_sel_hi:[1,0]
	v_add3_u32 v63, 0, v63, v85
	v_and_b32_e32 v92, 0xffe0, v101
	v_add3_u32 v85, 0, v90, v91
	v_add3_u32 v102, 0, v92, v93
	s_waitcnt lgkmcnt(0)
	s_barrier
	s_waitcnt vmcnt(4)
	v_mul_f64 v[90:91], v[42:43], v[66:67]
	v_mul_f64 v[66:67], v[40:41], v[66:67]
	s_waitcnt vmcnt(3)
	v_mul_f64 v[92:93], v[14:15], v[70:71]
	v_mul_f64 v[70:71], v[12:13], v[70:71]
	;; [unrolled: 3-line block ×3, first 2 shown]
	s_waitcnt vmcnt(0)
	v_mul_f64 v[98:99], v[38:39], v[88:89]
	v_fma_f64 v[40:41], v[40:41], v[64:65], -v[90:91]
	v_mul_f64 v[96:97], v[46:47], v[78:79]
	v_mul_f64 v[78:79], v[44:45], v[78:79]
	;; [unrolled: 1-line block ×3, first 2 shown]
	v_fmac_f64_e32 v[66:67], v[42:43], v[64:65]
	v_fma_f64 v[12:13], v[12:13], v[68:69], -v[92:93]
	v_fmac_f64_e32 v[70:71], v[14:15], v[68:69]
	v_fma_f64 v[14:15], v[48:49], v[72:73], -v[94:95]
	;; [unrolled: 2-line block ×3, first 2 shown]
	v_add_f64 v[36:37], v[20:21], -v[40:41]
	v_fma_f64 v[48:49], v[44:45], v[76:77], -v[96:97]
	v_fmac_f64_e32 v[78:79], v[46:47], v[76:77]
	v_fmac_f64_e32 v[88:89], v[38:39], v[86:87]
	v_add_f64 v[38:39], v[22:23], -v[66:67]
	v_add_f64 v[40:41], v[24:25], -v[12:13]
	;; [unrolled: 1-line block ×5, first 2 shown]
	v_fma_f64 v[20:21], v[20:21], 2.0, -v[36:37]
	v_add_f64 v[48:49], v[28:29], -v[48:49]
	v_add_f64 v[50:51], v[30:31], -v[78:79]
	v_fma_f64 v[22:23], v[22:23], 2.0, -v[38:39]
	v_fma_f64 v[24:25], v[24:25], 2.0, -v[40:41]
	v_fma_f64 v[26:27], v[26:27], 2.0, -v[42:43]
	v_fma_f64 v[32:33], v[32:33], 2.0, -v[44:45]
	v_fma_f64 v[34:35], v[34:35], 2.0, -v[46:47]
	ds_write_b128 v63, v[36:39] offset:208
	ds_write_b128 v63, v[20:23]
	ds_write_b128 v85, v[24:27]
	ds_write_b128 v85, v[40:43] offset:208
	ds_write_b128 v102, v[32:35]
	ds_write_b128 v102, v[44:47] offset:208
	v_lshrrev_b32_e32 v20, 16, v101
	v_add_f64 v[12:13], v[16:17], -v[64:65]
	v_add_f64 v[14:15], v[18:19], -v[88:89]
	v_fma_f64 v[28:29], v[28:29], 2.0, -v[48:49]
	v_fma_f64 v[30:31], v[30:31], 2.0, -v[50:51]
	v_add3_u32 v20, 0, v20, v100
	ds_write_b128 v20, v[28:31]
	ds_write_b128 v20, v[48:51] offset:208
	s_and_saveexec_b64 s[2:3], vcc
	s_cbranch_execz .LBB0_19
; %bb.18:
	v_mul_lo_u16_e32 v20, 26, v59
	v_lshlrev_b32_e32 v20, 4, v20
	v_fma_f64 v[18:19], v[18:19], 2.0, -v[14:15]
	v_fma_f64 v[16:17], v[16:17], 2.0, -v[12:13]
	v_add3_u32 v20, 0, v62, v20
	ds_write_b128 v20, v[16:19]
	ds_write_b128 v20, v[12:15] offset:208
.LBB0_19:
	s_or_b64 exec, exec, s[2:3]
	v_lshrrev_b16_e32 v59, 11, v55
	v_mul_lo_u16_e32 v16, 26, v59
	v_sub_u16_e32 v85, v84, v16
	v_mov_b32_e32 v16, 5
	v_lshlrev_b32_sdwa v16, v16, v85 dst_sel:DWORD dst_unused:UNUSED_PAD src0_sel:DWORD src1_sel:BYTE_0
	v_lshrrev_b32_e32 v104, 19, v54
	s_waitcnt lgkmcnt(0)
	s_barrier
	global_load_dwordx4 v[20:23], v16, s[8:9] offset:224
	global_load_dwordx4 v[24:27], v16, s[8:9] offset:208
	v_mul_lo_u16_e32 v16, 26, v104
	v_sub_u16_e32 v105, v57, v16
	v_lshlrev_b32_e32 v16, 5, v105
	v_lshrrev_b32_e32 v53, 19, v53
	global_load_dwordx4 v[28:31], v16, s[8:9] offset:224
	global_load_dwordx4 v[32:35], v16, s[8:9] offset:208
	v_mul_lo_u16_e32 v16, 26, v53
	v_sub_u16_e32 v106, v58, v16
	v_lshlrev_b32_e32 v16, 5, v106
	global_load_dwordx4 v[36:39], v16, s[8:9] offset:208
	global_load_dwordx4 v[40:43], v16, s[8:9] offset:224
	ds_read_b128 v[44:47], v60
	ds_read_b128 v[48:51], v246
	ds_read_b128 v[62:65], v246 offset:2912
	ds_read_b128 v[66:69], v246 offset:17472
	;; [unrolled: 1-line block ×5, first 2 shown]
	ds_read_b128 v[16:19], v61
	ds_read_b128 v[90:93], v246 offset:23296
	s_mov_b32 s2, 0xe8584caa
	s_mov_b32 s3, 0x3febb67a
	;; [unrolled: 1-line block ×4, first 2 shown]
	s_waitcnt lgkmcnt(0)
	s_barrier
	s_waitcnt vmcnt(5)
	v_mul_f64 v[78:79], v[68:69], v[22:23]
	s_waitcnt vmcnt(4)
	v_mul_f64 v[54:55], v[46:47], v[26:27]
	v_mul_f64 v[26:27], v[44:45], v[26:27]
	;; [unrolled: 1-line block ×3, first 2 shown]
	v_fmac_f64_e32 v[26:27], v[46:47], v[24:25]
	s_waitcnt vmcnt(3)
	v_mul_f64 v[96:97], v[72:73], v[30:31]
	s_waitcnt vmcnt(2)
	v_mul_f64 v[94:95], v[76:77], v[34:35]
	v_mul_f64 v[34:35], v[74:75], v[34:35]
	;; [unrolled: 1-line block ×3, first 2 shown]
	s_waitcnt vmcnt(1)
	v_mul_f64 v[98:99], v[88:89], v[38:39]
	v_mul_f64 v[100:101], v[86:87], v[38:39]
	s_waitcnt vmcnt(0)
	v_mul_f64 v[38:39], v[92:93], v[42:43]
	v_mul_f64 v[102:103], v[90:91], v[42:43]
	v_fma_f64 v[42:43], v[44:45], v[24:25], -v[54:55]
	v_fma_f64 v[24:25], v[66:67], v[20:21], -v[78:79]
	v_fmac_f64_e32 v[22:23], v[68:69], v[20:21]
	v_fmac_f64_e32 v[34:35], v[76:77], v[32:33]
	;; [unrolled: 1-line block ×3, first 2 shown]
	v_fma_f64 v[20:21], v[74:75], v[32:33], -v[94:95]
	v_fma_f64 v[32:33], v[70:71], v[28:29], -v[96:97]
	;; [unrolled: 1-line block ×3, first 2 shown]
	v_fmac_f64_e32 v[100:101], v[88:89], v[36:37]
	v_add_f64 v[36:37], v[42:43], v[24:25]
	v_add_f64 v[54:55], v[26:27], v[22:23]
	v_add_f64 v[70:71], v[34:35], -v[30:31]
	v_add_f64 v[72:73], v[64:65], v[34:35]
	v_add_f64 v[34:35], v[34:35], v[30:31]
	v_fma_f64 v[46:47], v[90:91], v[40:41], -v[38:39]
	v_fmac_f64_e32 v[102:103], v[92:93], v[40:41]
	v_add_f64 v[28:29], v[48:49], v[42:43]
	v_add_f64 v[38:39], v[26:27], -v[22:23]
	v_add_f64 v[40:41], v[50:51], v[26:27]
	v_add_f64 v[42:43], v[42:43], -v[24:25]
	v_add_f64 v[66:67], v[62:63], v[20:21]
	v_add_f64 v[68:69], v[20:21], v[32:33]
	v_add_f64 v[20:21], v[20:21], -v[32:33]
	v_fmac_f64_e32 v[48:49], -0.5, v[36:37]
	v_fmac_f64_e32 v[50:51], -0.5, v[54:55]
	;; [unrolled: 1-line block ×3, first 2 shown]
	v_fma_f64 v[36:37], s[2:3], v[38:39], v[48:49]
	v_fmac_f64_e32 v[48:49], s[10:11], v[38:39]
	v_fma_f64 v[38:39], s[10:11], v[42:43], v[50:51]
	v_fmac_f64_e32 v[50:51], s[2:3], v[42:43]
	;; [unrolled: 2-line block ×3, first 2 shown]
	v_add_f64 v[20:21], v[44:45], v[46:47]
	v_add_f64 v[74:75], v[16:17], v[44:45]
	v_add_f64 v[26:27], v[40:41], v[22:23]
	v_fmac_f64_e32 v[16:17], -0.5, v[20:21]
	v_add_f64 v[22:23], v[100:101], -v[102:103]
	v_fma_f64 v[20:21], s[2:3], v[22:23], v[16:17]
	v_fmac_f64_e32 v[16:17], s[10:11], v[22:23]
	v_add_f64 v[22:23], v[18:19], v[100:101]
	v_add_f64 v[34:35], v[22:23], v[102:103]
	;; [unrolled: 1-line block ×3, first 2 shown]
	v_fmac_f64_e32 v[18:19], -0.5, v[22:23]
	v_add_f64 v[44:45], v[44:45], -v[46:47]
	v_fma_f64 v[22:23], s[10:11], v[44:45], v[18:19]
	v_fmac_f64_e32 v[18:19], s[2:3], v[44:45]
	v_mul_u32_u24_e32 v44, 0x4e0, v59
	v_lshlrev_b32_sdwa v45, v52, v85 dst_sel:DWORD dst_unused:UNUSED_PAD src0_sel:DWORD src1_sel:BYTE_0
	v_add_f64 v[24:25], v[28:29], v[24:25]
	v_add3_u32 v44, 0, v44, v45
	ds_write_b128 v44, v[24:27]
	ds_write_b128 v44, v[36:39] offset:416
	ds_write_b128 v44, v[48:51] offset:832
	v_mul_u32_u24_e32 v24, 0x4e0, v104
	v_lshlrev_b32_e32 v25, 4, v105
	v_add_f64 v[28:29], v[66:67], v[32:33]
	v_fmac_f64_e32 v[62:63], -0.5, v[68:69]
	v_add_f64 v[30:31], v[72:73], v[30:31]
	v_add3_u32 v24, 0, v24, v25
	v_fma_f64 v[40:41], s[2:3], v[70:71], v[62:63]
	v_fmac_f64_e32 v[62:63], s[10:11], v[70:71]
	ds_write_b128 v24, v[28:31]
	ds_write_b128 v24, v[40:43] offset:416
	ds_write_b128 v24, v[62:65] offset:832
	v_mul_u32_u24_e32 v24, 0x4e0, v53
	v_lshlrev_b32_e32 v25, 4, v106
	v_add_f64 v[32:33], v[74:75], v[46:47]
	v_add3_u32 v24, 0, v24, v25
	ds_write_b128 v24, v[32:35]
	ds_write_b128 v24, v[20:23] offset:416
	ds_write_b128 v24, v[16:19] offset:832
	s_waitcnt lgkmcnt(0)
	s_barrier
	ds_read_b128 v[28:31], v246
	ds_read_b128 v[52:55], v246 offset:3744
	ds_read_b128 v[48:51], v246 offset:7488
	;; [unrolled: 1-line block ×6, first 2 shown]
	v_cmp_gt_u32_e64 s[2:3], 52, v84
                                        ; implicit-def: $vgpr26_vgpr27
	s_and_saveexec_b64 s[10:11], s[2:3]
	s_cbranch_execz .LBB0_21
; %bb.20:
	ds_read_b128 v[20:23], v246 offset:2912
	ds_read_b128 v[16:19], v246 offset:6656
	;; [unrolled: 1-line block ×7, first 2 shown]
.LBB0_21:
	s_or_b64 exec, exec, s[10:11]
	v_lshrrev_b16_e32 v59, 1, v84
	v_and_b32_e32 v59, 0x7f, v59
	v_mul_lo_u16_e32 v59, 0xd3, v59
	v_lshrrev_b16_e32 v59, 13, v59
	v_mul_lo_u16_e32 v62, 0x4e, v59
	v_sub_u16_e32 v85, v84, v62
	v_mov_b32_e32 v62, 6
	v_mul_u32_u24_sdwa v62, v85, v62 dst_sel:DWORD dst_unused:UNUSED_PAD src0_sel:BYTE_0 src1_sel:DWORD
	v_lshlrev_b32_e32 v78, 4, v62
	global_load_dwordx4 v[62:65], v78, s[8:9] offset:1040
	global_load_dwordx4 v[66:69], v78, s[8:9] offset:1056
	;; [unrolled: 1-line block ×6, first 2 shown]
	s_mov_b32 s12, 0x37e14327
	s_mov_b32 s14, 0x36b3c0b5
	s_mov_b32 s18, 0xe976ee23
	s_mov_b32 s10, 0x429ad128
	s_mov_b32 s13, 0x3fe948f6
	s_mov_b32 s15, 0x3fac98ee
	s_mov_b32 s19, 0xbfe11646
	s_mov_b32 s11, 0x3febfeb5
	s_mov_b32 s16, 0xaaaaaaaa
	s_mov_b32 s20, 0x5476071b
	s_mov_b32 s28, 0xb247c609
	s_mov_b32 s17, 0xbff2aaaa
	s_mov_b32 s21, 0x3fe77f67
	s_mov_b32 s25, 0xbfe77f67
	s_mov_b32 s24, s20
	s_mov_b32 s29, 0x3fd5d0dc
	s_mov_b32 s27, 0xbfd5d0dc
	s_mov_b32 s26, s28
	s_mov_b32 s22, 0x37c3f68c
	s_mov_b32 s23, 0x3fdc38aa
	v_mul_u32_u24_e32 v59, 0x2220, v59
	s_waitcnt lgkmcnt(0)
	s_barrier
	s_waitcnt vmcnt(5)
	v_mul_f64 v[78:79], v[54:55], v[64:65]
	v_mul_f64 v[64:65], v[52:53], v[64:65]
	s_waitcnt vmcnt(4)
	v_mul_f64 v[94:95], v[50:51], v[68:69]
	v_mul_f64 v[68:69], v[48:49], v[68:69]
	;; [unrolled: 3-line block ×4, first 2 shown]
	v_mul_f64 v[96:97], v[46:47], v[72:73]
	v_mul_f64 v[72:73], v[44:45], v[72:73]
	;; [unrolled: 1-line block ×4, first 2 shown]
	v_fma_f64 v[52:53], v[52:53], v[62:63], -v[78:79]
	v_fmac_f64_e32 v[64:65], v[54:55], v[62:63]
	v_fma_f64 v[48:49], v[48:49], v[66:67], -v[94:95]
	v_fmac_f64_e32 v[68:69], v[50:51], v[66:67]
	;; [unrolled: 2-line block ×6, first 2 shown]
	v_add_f64 v[34:35], v[52:53], v[32:33]
	v_add_f64 v[38:39], v[64:65], v[92:93]
	;; [unrolled: 1-line block ×4, first 2 shown]
	v_add_f64 v[32:33], v[52:53], -v[32:33]
	v_add_f64 v[42:43], v[64:65], -v[92:93]
	v_add_f64 v[52:53], v[44:45], v[40:41]
	v_add_f64 v[54:55], v[72:73], v[76:77]
	;; [unrolled: 1-line block ×4, first 2 shown]
	v_add_f64 v[36:37], v[48:49], -v[36:37]
	v_add_f64 v[48:49], v[68:69], -v[88:89]
	;; [unrolled: 1-line block ×9, first 2 shown]
	v_add_f64 v[52:53], v[52:53], v[62:63]
	v_add_f64 v[54:55], v[54:55], v[64:65]
	v_add_f64 v[44:45], v[76:77], -v[72:73]
	v_add_f64 v[70:71], v[40:41], v[36:37]
	v_add_f64 v[74:75], v[40:41], -v[36:37]
	v_add_f64 v[36:37], v[36:37], -v[32:33]
	v_add_f64 v[28:29], v[28:29], v[52:53]
	v_add_f64 v[30:31], v[30:31], v[54:55]
	;; [unrolled: 1-line block ×3, first 2 shown]
	v_add_f64 v[76:77], v[44:45], -v[48:49]
	v_add_f64 v[40:41], v[32:33], -v[40:41]
	v_add_f64 v[48:49], v[48:49], -v[42:43]
	v_add_f64 v[32:33], v[70:71], v[32:33]
	v_mul_f64 v[34:35], v[34:35], s[12:13]
	v_mul_f64 v[38:39], v[38:39], s[12:13]
	v_mul_f64 v[62:63], v[46:47], s[14:15]
	v_mul_f64 v[64:65], v[50:51], s[14:15]
	v_mul_f64 v[70:71], v[74:75], s[18:19]
	v_mul_f64 v[74:75], v[36:37], s[10:11]
	v_mov_b64_e32 v[78:79], v[28:29]
	v_mov_b64_e32 v[86:87], v[30:31]
	v_add_f64 v[44:45], v[42:43], -v[44:45]
	v_add_f64 v[42:43], v[72:73], v[42:43]
	v_mul_f64 v[72:73], v[76:77], s[18:19]
	v_mul_f64 v[76:77], v[48:49], s[10:11]
	v_fmac_f64_e32 v[78:79], s[16:17], v[52:53]
	v_fmac_f64_e32 v[86:87], s[16:17], v[54:55]
	v_fma_f64 v[52:53], v[66:67], s[20:21], -v[62:63]
	v_fma_f64 v[54:55], v[68:69], s[20:21], -v[64:65]
	;; [unrolled: 1-line block ×3, first 2 shown]
	v_fmac_f64_e32 v[34:35], s[14:15], v[46:47]
	v_fma_f64 v[46:47], v[68:69], s[24:25], -v[38:39]
	v_fmac_f64_e32 v[38:39], s[14:15], v[50:51]
	v_fma_f64 v[50:51], v[36:37], s[10:11], -v[70:71]
	v_fma_f64 v[64:65], v[40:41], s[26:27], -v[74:75]
	;; [unrolled: 1-line block ×3, first 2 shown]
	v_fmac_f64_e32 v[72:73], s[28:29], v[44:45]
	v_fma_f64 v[66:67], v[44:45], s[26:27], -v[76:77]
	v_add_f64 v[44:45], v[52:53], v[78:79]
	v_add_f64 v[52:53], v[54:55], v[86:87]
	v_add_f64 v[54:55], v[62:63], v[78:79]
	v_add_f64 v[62:63], v[46:47], v[86:87]
	v_fmac_f64_e32 v[50:51], s[22:23], v[32:33]
	v_fmac_f64_e32 v[64:65], s[22:23], v[32:33]
	v_add_f64 v[74:75], v[38:39], v[86:87]
	v_fmac_f64_e32 v[72:73], s[22:23], v[42:43]
	v_fmac_f64_e32 v[48:49], s[22:23], v[42:43]
	;; [unrolled: 1-line block ×3, first 2 shown]
	v_add_f64 v[38:39], v[62:63], -v[64:65]
	v_add_f64 v[42:43], v[50:51], v[52:53]
	v_add_f64 v[46:47], v[52:53], -v[50:51]
	v_add_f64 v[50:51], v[64:65], v[62:63]
	v_mov_b32_e32 v62, 4
	v_fmac_f64_e32 v[70:71], s[28:29], v[40:41]
	v_lshlrev_b32_sdwa v62, v62, v85 dst_sel:DWORD dst_unused:UNUSED_PAD src0_sel:DWORD src1_sel:BYTE_0
	v_add_f64 v[68:69], v[34:35], v[78:79]
	v_fmac_f64_e32 v[70:71], s[22:23], v[32:33]
	v_add3_u32 v59, 0, v59, v62
	v_add_f64 v[32:33], v[72:73], v[68:69]
	v_add_f64 v[34:35], v[74:75], -v[70:71]
	v_add_f64 v[36:37], v[66:67], v[54:55]
	v_add_f64 v[40:41], v[44:45], -v[48:49]
	;; [unrolled: 2-line block ×3, first 2 shown]
	v_add_f64 v[52:53], v[68:69], -v[72:73]
	v_add_f64 v[54:55], v[70:71], v[74:75]
	ds_write_b128 v59, v[28:31]
	ds_write_b128 v59, v[32:35] offset:1248
	ds_write_b128 v59, v[36:39] offset:2496
	;; [unrolled: 1-line block ×6, first 2 shown]
	s_and_saveexec_b64 s[30:31], s[2:3]
	s_cbranch_execz .LBB0_23
; %bb.22:
	v_lshrrev_b16_e32 v28, 1, v57
	v_mul_u32_u24_e32 v28, 0x6907, v28
	v_lshrrev_b32_e32 v28, 20, v28
	v_mul_lo_u16_e32 v28, 0x4e, v28
	v_sub_u16_e32 v59, v57, v28
	v_mul_u32_u24_e32 v28, 6, v59
	v_lshlrev_b32_e32 v52, 4, v28
	global_load_dwordx4 v[28:31], v52, s[8:9] offset:1088
	global_load_dwordx4 v[32:35], v52, s[8:9] offset:1072
	;; [unrolled: 1-line block ×6, first 2 shown]
	s_waitcnt vmcnt(5)
	v_mul_f64 v[52:53], v[6:7], v[30:31]
	s_waitcnt vmcnt(4)
	v_mul_f64 v[54:55], v[10:11], v[34:35]
	;; [unrolled: 2-line block ×6, first 2 shown]
	v_mul_f64 v[34:35], v[8:9], v[34:35]
	v_mul_f64 v[30:31], v[4:5], v[30:31]
	v_mul_f64 v[38:39], v[12:13], v[38:39]
	v_mul_f64 v[42:43], v[0:1], v[42:43]
	v_mul_f64 v[46:47], v[16:17], v[46:47]
	v_mul_f64 v[50:51], v[24:25], v[50:51]
	v_fmac_f64_e32 v[34:35], v[10:11], v[32:33]
	v_fmac_f64_e32 v[30:31], v[6:7], v[28:29]
	;; [unrolled: 1-line block ×6, first 2 shown]
	v_fma_f64 v[4:5], v[4:5], v[28:29], -v[52:53]
	v_fma_f64 v[8:9], v[8:9], v[32:33], -v[54:55]
	;; [unrolled: 1-line block ×6, first 2 shown]
	v_add_f64 v[14:15], v[34:35], v[30:31]
	v_add_f64 v[18:19], v[38:39], v[42:43]
	;; [unrolled: 1-line block ×3, first 2 shown]
	v_add_f64 v[2:3], v[4:5], -v[8:9]
	v_add_f64 v[6:7], v[12:13], -v[0:1]
	;; [unrolled: 1-line block ×3, first 2 shown]
	v_add_f64 v[4:5], v[8:9], v[4:5]
	v_add_f64 v[0:1], v[12:13], v[0:1]
	;; [unrolled: 1-line block ×3, first 2 shown]
	v_add_f64 v[12:13], v[30:31], -v[34:35]
	v_add_f64 v[16:17], v[38:39], -v[42:43]
	;; [unrolled: 1-line block ×3, first 2 shown]
	v_add_f64 v[36:37], v[18:19], v[26:27]
	v_add_f64 v[24:25], v[46:47], -v[50:51]
	v_add_f64 v[28:29], v[2:3], v[6:7]
	v_add_f64 v[30:31], v[2:3], -v[6:7]
	v_add_f64 v[32:33], v[10:11], -v[2:3]
	v_add_f64 v[2:3], v[14:15], -v[18:19]
	v_add_f64 v[40:41], v[8:9], -v[4:5]
	v_add_f64 v[42:43], v[0:1], v[8:9]
	v_add_f64 v[44:45], v[12:13], v[16:17]
	v_add_f64 v[48:49], v[6:7], -v[10:11]
	v_add_f64 v[18:19], v[18:19], -v[26:27]
	v_add_f64 v[26:27], v[0:1], -v[8:9]
	v_mul_f64 v[6:7], v[34:35], s[12:13]
	v_add_f64 v[8:9], v[14:15], v[36:37]
	v_add_f64 v[38:39], v[4:5], -v[0:1]
	v_mul_f64 v[30:31], v[30:31], s[18:19]
	v_mul_f64 v[50:51], v[2:3], s[14:15]
	v_add_f64 v[4:5], v[4:5], v[42:43]
	v_add_f64 v[36:37], v[44:45], v[24:25]
	v_mul_f64 v[14:15], v[48:49], s[10:11]
	v_fma_f64 v[44:45], s[14:15], v[2:3], v[6:7]
	v_add_f64 v[2:3], v[22:23], v[8:9]
	v_add_f64 v[46:47], v[12:13], -v[16:17]
	v_fma_f64 v[42:43], s[28:29], v[32:33], v[30:31]
	v_add_f64 v[0:1], v[20:21], v[4:5]
	v_fma_f64 v[20:21], v[32:33], s[26:27], -v[14:15]
	v_mov_b64_e32 v[32:33], v[2:3]
	v_add_f64 v[16:17], v[16:17], -v[24:25]
	v_add_f64 v[12:13], v[24:25], -v[12:13]
	v_add_f64 v[28:29], v[28:29], v[10:11]
	v_mul_f64 v[10:11], v[40:41], s[12:13]
	v_mul_f64 v[40:41], v[46:47], s[18:19]
	v_fmac_f64_e32 v[32:33], s[16:17], v[8:9]
	v_mul_f64 v[8:9], v[16:17], s[10:11]
	v_mul_f64 v[34:35], v[38:39], s[14:15]
	v_fma_f64 v[22:23], s[14:15], v[38:39], v[10:11]
	v_fma_f64 v[38:39], s[28:29], v[12:13], v[40:41]
	v_mov_b64_e32 v[46:47], v[0:1]
	v_fma_f64 v[24:25], v[12:13], s[26:27], -v[8:9]
	v_fma_f64 v[12:13], v[18:19], s[20:21], -v[50:51]
	;; [unrolled: 1-line block ×4, first 2 shown]
	v_fmac_f64_e32 v[46:47], s[16:17], v[4:5]
	v_add_f64 v[18:19], v[12:13], v[32:33]
	v_fma_f64 v[30:31], v[48:49], s[10:11], -v[30:31]
	v_fma_f64 v[16:17], v[16:17], s[10:11], -v[40:41]
	;; [unrolled: 1-line block ×3, first 2 shown]
	v_fmac_f64_e32 v[42:43], s[22:23], v[28:29]
	v_fmac_f64_e32 v[38:39], s[22:23], v[36:37]
	v_fmac_f64_e32 v[20:21], s[22:23], v[28:29]
	v_add_f64 v[44:45], v[44:45], v[32:33]
	v_add_f64 v[52:53], v[22:23], v[46:47]
	;; [unrolled: 1-line block ×4, first 2 shown]
	v_fmac_f64_e32 v[24:25], s[22:23], v[36:37]
	v_fmac_f64_e32 v[30:31], s[22:23], v[28:29]
	;; [unrolled: 1-line block ×3, first 2 shown]
	v_add_f64 v[26:27], v[12:13], v[46:47]
	v_lshl_add_u32 v28, v59, 4, 0
	v_add_f64 v[6:7], v[42:43], v[44:45]
	v_add_f64 v[4:5], v[52:53], -v[38:39]
	v_add_f64 v[10:11], v[20:21], v[22:23]
	v_add_f64 v[8:9], v[54:55], -v[24:25]
	v_add_f64 v[14:15], v[18:19], -v[30:31]
	v_add_f64 v[12:13], v[16:17], v[26:27]
	v_add_f64 v[18:19], v[30:31], v[18:19]
	v_add_f64 v[16:17], v[26:27], -v[16:17]
	v_add_f64 v[22:23], v[22:23], -v[20:21]
	v_add_f64 v[20:21], v[24:25], v[54:55]
	v_add_f64 v[26:27], v[44:45], -v[42:43]
	v_add_f64 v[24:25], v[38:39], v[52:53]
	ds_write_b128 v28, v[0:3] offset:17472
	ds_write_b128 v28, v[24:27] offset:18720
	;; [unrolled: 1-line block ×7, first 2 shown]
.LBB0_23:
	s_or_b64 exec, exec, s[30:31]
	v_lshlrev_b32_e32 v0, 1, v84
	v_mov_b32_e32 v1, 0
	v_lshl_add_u64 v[2:3], v[0:1], 4, s[8:9]
	s_movk_i32 s12, 0x2000
	s_mov_b64 s[10:11], 0x2150
	v_add_co_u32_e64 v12, s[2:3], s12, v2
	v_lshl_add_u64 v[10:11], v[2:3], 0, s[10:11]
	s_nop 0
	v_addc_co_u32_e64 v13, s[2:3], 0, v3, s[2:3]
	v_lshlrev_b32_e32 v0, 1, v57
	s_waitcnt lgkmcnt(0)
	s_barrier
	global_load_dwordx4 v[2:5], v[12:13], off offset:336
	global_load_dwordx4 v[6:9], v[10:11], off offset:16
	v_lshl_add_u64 v[10:11], v[0:1], 4, s[8:9]
	v_add_co_u32_e64 v20, s[2:3], s12, v10
	v_lshlrev_b32_e32 v0, 1, v58
	v_lshl_add_u64 v[18:19], v[10:11], 0, s[10:11]
	v_addc_co_u32_e64 v21, s[2:3], 0, v11, s[2:3]
	v_lshl_add_u64 v[22:23], v[0:1], 4, s[8:9]
	global_load_dwordx4 v[10:13], v[20:21], off offset:336
	global_load_dwordx4 v[14:17], v[18:19], off offset:16
	v_add_co_u32_e64 v18, s[2:3], s12, v22
	s_add_u32 s8, s8, 0x6590
	s_nop 0
	v_addc_co_u32_e64 v19, s[2:3], 0, v23, s[2:3]
	v_lshl_add_u64 v[22:23], v[22:23], 0, s[10:11]
	global_load_dwordx4 v[18:21], v[18:19], off offset:336
	s_mov_b32 s2, 0xe8584caa
	global_load_dwordx4 v[22:25], v[22:23], off offset:16
	ds_read_b128 v[26:29], v60
	ds_read_b128 v[30:33], v246
	ds_read_b128 v[34:37], v246 offset:2912
	ds_read_b128 v[38:41], v246 offset:17472
	;; [unrolled: 1-line block ×5, first 2 shown]
	ds_read_b128 v[62:65], v61
	ds_read_b128 v[66:69], v246 offset:23296
	s_mov_b32 s3, 0x3febb67a
	s_mov_b32 s11, 0xbfebb67a
	;; [unrolled: 1-line block ×3, first 2 shown]
	s_waitcnt lgkmcnt(0)
	s_barrier
	v_lshlrev_b32_e32 v0, 4, v84
	s_addc_u32 s9, s9, 0
	s_waitcnt vmcnt(5)
	v_mul_f64 v[54:55], v[28:29], v[4:5]
	v_mul_f64 v[4:5], v[26:27], v[4:5]
	s_waitcnt vmcnt(4)
	v_mul_f64 v[70:71], v[40:41], v[8:9]
	v_mul_f64 v[8:9], v[38:39], v[8:9]
	v_fma_f64 v[26:27], v[26:27], v[2:3], -v[54:55]
	v_fmac_f64_e32 v[4:5], v[28:29], v[2:3]
	v_fma_f64 v[2:3], v[38:39], v[6:7], -v[70:71]
	v_fmac_f64_e32 v[8:9], v[40:41], v[6:7]
	s_waitcnt vmcnt(3)
	v_mul_f64 v[6:7], v[48:49], v[12:13]
	v_mul_f64 v[28:29], v[46:47], v[12:13]
	s_waitcnt vmcnt(2)
	v_mul_f64 v[12:13], v[44:45], v[16:17]
	v_mul_f64 v[16:17], v[42:43], v[16:17]
	v_fma_f64 v[38:39], v[46:47], v[10:11], -v[6:7]
	v_fma_f64 v[40:41], v[42:43], v[14:15], -v[12:13]
	v_add_f64 v[12:13], v[30:31], v[26:27]
	v_fmac_f64_e32 v[28:29], v[48:49], v[10:11]
	v_fmac_f64_e32 v[16:17], v[44:45], v[14:15]
	s_waitcnt vmcnt(1)
	v_mul_f64 v[6:7], v[52:53], v[20:21]
	s_waitcnt vmcnt(0)
	v_mul_f64 v[10:11], v[68:69], v[24:25]
	v_add_f64 v[14:15], v[26:27], v[2:3]
	v_add_f64 v[26:27], v[26:27], -v[2:3]
	v_add_f64 v[2:3], v[12:13], v[2:3]
	v_add_f64 v[12:13], v[38:39], v[40:41]
	v_mul_f64 v[42:43], v[50:51], v[20:21]
	v_fma_f64 v[48:49], v[50:51], v[18:19], -v[6:7]
	v_fma_f64 v[50:51], v[66:67], v[22:23], -v[10:11]
	v_add_f64 v[10:11], v[34:35], v[38:39]
	v_fmac_f64_e32 v[34:35], -0.5, v[12:13]
	v_add_f64 v[12:13], v[28:29], -v[16:17]
	v_fmac_f64_e32 v[30:31], -0.5, v[14:15]
	v_fma_f64 v[14:15], s[2:3], v[12:13], v[34:35]
	v_fmac_f64_e32 v[34:35], s[10:11], v[12:13]
	v_add_f64 v[12:13], v[36:37], v[28:29]
	v_mul_f64 v[24:25], v[66:67], v[24:25]
	v_add_f64 v[20:21], v[4:5], -v[8:9]
	v_add_f64 v[12:13], v[12:13], v[16:17]
	v_add_f64 v[16:17], v[28:29], v[16:17]
	v_fmac_f64_e32 v[42:43], v[52:53], v[18:19]
	v_fmac_f64_e32 v[24:25], v[68:69], v[22:23]
	v_fma_f64 v[6:7], s[2:3], v[20:21], v[30:31]
	v_fmac_f64_e32 v[30:31], s[10:11], v[20:21]
	v_fmac_f64_e32 v[36:37], -0.5, v[16:17]
	v_add_f64 v[18:19], v[38:39], -v[40:41]
	v_add_f64 v[20:21], v[48:49], v[50:51]
	v_fma_f64 v[16:17], s[10:11], v[18:19], v[36:37]
	v_fmac_f64_e32 v[36:37], s[2:3], v[18:19]
	v_add_f64 v[18:19], v[62:63], v[48:49]
	v_fmac_f64_e32 v[62:63], -0.5, v[20:21]
	v_add_f64 v[20:21], v[42:43], -v[24:25]
	v_add_f64 v[46:47], v[4:5], v[8:9]
	v_fma_f64 v[22:23], s[2:3], v[20:21], v[62:63]
	v_fmac_f64_e32 v[62:63], s[10:11], v[20:21]
	v_add_f64 v[20:21], v[64:65], v[42:43]
	v_add_f64 v[44:45], v[32:33], v[4:5]
	v_fmac_f64_e32 v[32:33], -0.5, v[46:47]
	v_add_f64 v[20:21], v[20:21], v[24:25]
	v_add_f64 v[24:25], v[42:43], v[24:25]
	;; [unrolled: 1-line block ×3, first 2 shown]
	v_fma_f64 v[8:9], s[10:11], v[26:27], v[32:33]
	v_fmac_f64_e32 v[32:33], s[2:3], v[26:27]
	v_fmac_f64_e32 v[64:65], -0.5, v[24:25]
	v_add_f64 v[26:27], v[48:49], -v[50:51]
	v_add_f64 v[10:11], v[10:11], v[40:41]
	v_add_f64 v[18:19], v[18:19], v[50:51]
	v_fma_f64 v[24:25], s[10:11], v[26:27], v[64:65]
	v_fmac_f64_e32 v[64:65], s[2:3], v[26:27]
	ds_write_b128 v246, v[2:5]
	ds_write_b128 v246, v[6:9] offset:8736
	ds_write_b128 v246, v[30:33] offset:17472
	;; [unrolled: 1-line block ×5, first 2 shown]
	ds_write_b128 v61, v[18:21]
	ds_write_b128 v61, v[22:25] offset:8736
	ds_write_b128 v61, v[62:65] offset:17472
	s_waitcnt lgkmcnt(0)
	s_barrier
	ds_read_b128 v[4:7], v246
	v_sub_u32_e32 v12, 0, v0
	v_cmp_ne_u32_e64 s[2:3], 0, v84
                                        ; implicit-def: $vgpr2_vgpr3
                                        ; implicit-def: $vgpr8_vgpr9
                                        ; implicit-def: $vgpr10_vgpr11
	s_and_saveexec_b64 s[10:11], s[2:3]
	s_xor_b64 s[2:3], exec, s[10:11]
	s_cbranch_execz .LBB0_25
; %bb.24:
	v_mov_b32_e32 v85, v1
	v_lshl_add_u64 v[0:1], v[84:85], 4, s[8:9]
	global_load_dwordx4 v[0:3], v[0:1], off
	ds_read_b128 v[8:11], v12 offset:26208
	s_waitcnt lgkmcnt(0)
	v_add_f64 v[14:15], v[4:5], v[8:9]
	v_add_f64 v[4:5], v[4:5], -v[8:9]
	v_add_f64 v[16:17], v[6:7], v[10:11]
	v_add_f64 v[6:7], v[6:7], -v[10:11]
	v_mul_f64 v[4:5], v[4:5], 0.5
	v_mul_f64 v[10:11], v[16:17], 0.5
	;; [unrolled: 1-line block ×3, first 2 shown]
	s_waitcnt vmcnt(0)
	v_mul_f64 v[16:17], v[4:5], v[2:3]
	v_fma_f64 v[8:9], v[10:11], v[2:3], v[6:7]
	v_fma_f64 v[2:3], v[10:11], v[2:3], -v[6:7]
	v_fma_f64 v[6:7], 0.5, v[14:15], v[16:17]
	v_fma_f64 v[14:15], v[14:15], 0.5, -v[16:17]
	v_fmac_f64_e32 v[6:7], v[10:11], v[0:1]
	v_fma_f64 v[8:9], -v[0:1], v[4:5], v[8:9]
	v_fma_f64 v[2:3], -v[0:1], v[4:5], v[2:3]
	;; [unrolled: 1-line block ×3, first 2 shown]
	ds_write_b64 v246, v[6:7]
	v_mov_b64_e32 v[10:11], v[84:85]
                                        ; implicit-def: $vgpr4_vgpr5
.LBB0_25:
	s_andn2_saveexec_b64 s[2:3], s[2:3]
	s_cbranch_execz .LBB0_27
; %bb.26:
	v_mov_b32_e32 v13, 0
	ds_read_b64 v[2:3], v13 offset:13112
	s_waitcnt lgkmcnt(1)
	v_add_f64 v[8:9], v[4:5], v[6:7]
	ds_write_b64 v246, v[8:9]
	v_mov_b64_e32 v[8:9], 0
	v_add_f64 v[0:1], v[4:5], -v[6:7]
	s_waitcnt lgkmcnt(1)
	v_xor_b32_e32 v3, 0x80000000, v3
	v_mov_b64_e32 v[10:11], 0
	ds_write_b64 v13, v[2:3] offset:13112
	v_mov_b64_e32 v[2:3], v[8:9]
.LBB0_27:
	s_or_b64 exec, exec, s[2:3]
	s_waitcnt lgkmcnt(0)
	v_lshl_add_u64 v[4:5], v[10:11], 4, s[8:9]
	global_load_dwordx4 v[14:17], v[4:5], off offset:2912
	v_mov_b32_e32 v59, 0
	v_lshl_add_u64 v[6:7], v[58:59], 4, s[8:9]
	global_load_dwordx4 v[18:21], v[6:7], off
	v_mov_b32_e32 v57, v59
	v_lshl_add_u64 v[6:7], v[56:57], 4, s[8:9]
	global_load_dwordx4 v[22:25], v[6:7], off
	ds_write_b64 v246, v[8:9] offset:8
	ds_write_b128 v12, v[0:3] offset:26208
	ds_read_b128 v[0:3], v246 offset:2912
	ds_read_b128 v[6:9], v12 offset:23296
	s_waitcnt lgkmcnt(0)
	v_add_f64 v[10:11], v[0:1], v[6:7]
	v_add_f64 v[0:1], v[0:1], -v[6:7]
	v_add_f64 v[26:27], v[2:3], v[8:9]
	v_add_f64 v[2:3], v[2:3], -v[8:9]
	v_mul_f64 v[8:9], v[0:1], 0.5
	v_mul_f64 v[6:7], v[26:27], 0.5
	;; [unrolled: 1-line block ×3, first 2 shown]
	s_waitcnt vmcnt(2)
	v_mul_f64 v[26:27], v[8:9], v[16:17]
	v_fma_f64 v[2:3], v[6:7], v[16:17], v[0:1]
	v_fma_f64 v[16:17], v[6:7], v[16:17], -v[0:1]
	v_fma_f64 v[0:1], 0.5, v[10:11], v[26:27]
	v_fma_f64 v[2:3], -v[14:15], v[8:9], v[2:3]
	v_fma_f64 v[10:11], v[10:11], 0.5, -v[26:27]
	v_fmac_f64_e32 v[0:1], v[6:7], v[14:15]
	v_fma_f64 v[8:9], -v[14:15], v[8:9], v[16:17]
	v_fma_f64 v[6:7], -v[6:7], v[14:15], v[10:11]
	ds_write_b128 v246, v[0:3] offset:2912
	ds_write_b128 v12, v[6:9] offset:23296
	ds_read_b128 v[0:3], v61
	ds_read_b128 v[6:9], v12 offset:20384
	s_waitcnt lgkmcnt(0)
	v_add_f64 v[10:11], v[0:1], v[6:7]
	v_add_f64 v[0:1], v[0:1], -v[6:7]
	v_add_f64 v[14:15], v[2:3], v[8:9]
	v_add_f64 v[2:3], v[2:3], -v[8:9]
	v_mul_f64 v[8:9], v[0:1], 0.5
	v_mul_f64 v[6:7], v[14:15], 0.5
	;; [unrolled: 1-line block ×3, first 2 shown]
	s_waitcnt vmcnt(1)
	v_mul_f64 v[14:15], v[8:9], v[20:21]
	v_fma_f64 v[2:3], v[6:7], v[20:21], v[0:1]
	v_fma_f64 v[16:17], v[6:7], v[20:21], -v[0:1]
	v_fma_f64 v[0:1], 0.5, v[10:11], v[14:15]
	v_fma_f64 v[2:3], -v[18:19], v[8:9], v[2:3]
	v_fma_f64 v[10:11], v[10:11], 0.5, -v[14:15]
	v_fmac_f64_e32 v[0:1], v[6:7], v[18:19]
	v_fma_f64 v[8:9], -v[18:19], v[8:9], v[16:17]
	v_fma_f64 v[6:7], -v[6:7], v[18:19], v[10:11]
	ds_write_b128 v61, v[0:3]
	ds_write_b128 v12, v[6:9] offset:20384
	ds_read_b128 v[0:3], v60
	ds_read_b128 v[6:9], v12 offset:17472
	s_waitcnt lgkmcnt(0)
	v_add_f64 v[10:11], v[0:1], v[6:7]
	v_add_f64 v[0:1], v[0:1], -v[6:7]
	v_add_f64 v[14:15], v[2:3], v[8:9]
	v_add_f64 v[2:3], v[2:3], -v[8:9]
	v_mul_f64 v[8:9], v[0:1], 0.5
	v_mul_f64 v[6:7], v[14:15], 0.5
	;; [unrolled: 1-line block ×3, first 2 shown]
	s_waitcnt vmcnt(0)
	v_mul_f64 v[14:15], v[8:9], v[24:25]
	v_fma_f64 v[2:3], v[6:7], v[24:25], v[0:1]
	v_fma_f64 v[16:17], v[6:7], v[24:25], -v[0:1]
	v_fma_f64 v[0:1], 0.5, v[10:11], v[14:15]
	v_fma_f64 v[2:3], -v[22:23], v[8:9], v[2:3]
	v_fma_f64 v[10:11], v[10:11], 0.5, -v[14:15]
	v_fmac_f64_e32 v[0:1], v[6:7], v[22:23]
	v_fma_f64 v[8:9], -v[22:23], v[8:9], v[16:17]
	v_fma_f64 v[6:7], -v[6:7], v[22:23], v[10:11]
	ds_write_b128 v60, v[0:3]
	ds_write_b128 v12, v[6:9] offset:17472
	s_and_saveexec_b64 s[2:3], vcc
	s_cbranch_execz .LBB0_29
; %bb.28:
	s_movk_i32 s8, 0x2000
	v_add_co_u32_e32 v0, vcc, s8, v4
	s_nop 1
	v_addc_co_u32_e32 v1, vcc, 0, v5, vcc
	global_load_dwordx4 v[0:3], v[0:1], off offset:3456
	ds_read_b128 v[4:7], v246 offset:11648
	ds_read_b128 v[8:11], v12 offset:14560
	s_waitcnt lgkmcnt(0)
	v_add_f64 v[14:15], v[4:5], v[8:9]
	v_add_f64 v[4:5], v[4:5], -v[8:9]
	v_add_f64 v[16:17], v[6:7], v[10:11]
	v_add_f64 v[6:7], v[6:7], -v[10:11]
	v_mul_f64 v[8:9], v[4:5], 0.5
	v_mul_f64 v[10:11], v[16:17], 0.5
	;; [unrolled: 1-line block ×3, first 2 shown]
	s_waitcnt vmcnt(0)
	v_mul_f64 v[6:7], v[8:9], v[2:3]
	v_fma_f64 v[16:17], v[10:11], v[2:3], v[4:5]
	v_fma_f64 v[18:19], v[10:11], v[2:3], -v[4:5]
	v_fma_f64 v[2:3], 0.5, v[14:15], v[6:7]
	v_fma_f64 v[4:5], -v[0:1], v[8:9], v[16:17]
	v_fma_f64 v[6:7], v[14:15], 0.5, -v[6:7]
	v_fmac_f64_e32 v[2:3], v[10:11], v[0:1]
	v_fma_f64 v[8:9], -v[0:1], v[8:9], v[18:19]
	v_fma_f64 v[6:7], -v[10:11], v[0:1], v[6:7]
	ds_write_b128 v246, v[2:5] offset:11648
	ds_write_b128 v12, v[6:9] offset:14560
.LBB0_29:
	s_or_b64 exec, exec, s[2:3]
	s_waitcnt lgkmcnt(0)
	s_barrier
	s_and_saveexec_b64 s[2:3], s[0:1]
	s_cbranch_execz .LBB0_32
; %bb.30:
	v_mul_lo_u32 v2, s5, v82
	v_mul_lo_u32 v3, s4, v83
	v_mad_u64_u32 v[0:1], s[0:1], s4, v82, 0
	v_lshl_add_u32 v12, v84, 4, 0
	v_add3_u32 v1, v1, v3, v2
	ds_read_b128 v[2:5], v12
	ds_read_b128 v[6:9], v12 offset:2912
	v_lshl_add_u64 v[0:1], v[0:1], 4, s[6:7]
	v_mov_b32_e32 v85, 0
	v_lshl_add_u64 v[0:1], v[80:81], 4, v[0:1]
	v_lshl_add_u64 v[10:11], v[84:85], 4, v[0:1]
	s_waitcnt lgkmcnt(1)
	global_store_dwordx4 v[10:11], v[2:5], off
	s_movk_i32 s0, 0xb5
	v_cmp_eq_u32_e32 vcc, s0, v84
	v_add_u32_e32 v2, 0xb6, v84
	v_mov_b32_e32 v3, v85
	v_lshl_add_u64 v[2:3], v[2:3], 4, v[0:1]
	s_waitcnt lgkmcnt(0)
	global_store_dwordx4 v[2:3], v[6:9], off
	ds_read_b128 v[2:5], v12 offset:5824
	s_nop 0
	v_add_u32_e32 v6, 0x16c, v84
	v_mov_b32_e32 v7, v85
	v_lshl_add_u64 v[10:11], v[6:7], 4, v[0:1]
	ds_read_b128 v[6:9], v12 offset:8736
	s_waitcnt lgkmcnt(1)
	global_store_dwordx4 v[10:11], v[2:5], off
	s_nop 1
	v_add_u32_e32 v2, 0x222, v84
	v_mov_b32_e32 v3, v85
	v_lshl_add_u64 v[2:3], v[2:3], 4, v[0:1]
	s_waitcnt lgkmcnt(0)
	global_store_dwordx4 v[2:3], v[6:9], off
	ds_read_b128 v[2:5], v12 offset:11648
	s_nop 0
	v_add_u32_e32 v6, 0x2d8, v84
	v_mov_b32_e32 v7, v85
	v_lshl_add_u64 v[10:11], v[6:7], 4, v[0:1]
	ds_read_b128 v[6:9], v12 offset:14560
	s_waitcnt lgkmcnt(1)
	global_store_dwordx4 v[10:11], v[2:5], off
	s_nop 1
	;; [unrolled: 14-line block ×3, first 2 shown]
	v_add_u32_e32 v2, 0x4fa, v84
	v_mov_b32_e32 v3, v85
	v_lshl_add_u64 v[10:11], v[2:3], 4, v[0:1]
	ds_read_b128 v[2:5], v12 offset:23296
	s_waitcnt lgkmcnt(1)
	global_store_dwordx4 v[10:11], v[6:9], off
	s_nop 1
	v_add_u32_e32 v6, 0x5b0, v84
	v_mov_b32_e32 v7, v85
	v_lshl_add_u64 v[6:7], v[6:7], 4, v[0:1]
	s_waitcnt lgkmcnt(0)
	global_store_dwordx4 v[6:7], v[2:5], off
	s_and_b64 exec, exec, vcc
	s_cbranch_execz .LBB0_32
; %bb.31:
	ds_read_b128 v[2:5], v85 offset:26208
	v_add_co_u32_e32 v0, vcc, 0x6000, v0
	s_nop 1
	v_addc_co_u32_e32 v1, vcc, 0, v1, vcc
	s_waitcnt lgkmcnt(0)
	global_store_dwordx4 v[0:1], v[2:5], off offset:1632
.LBB0_32:
	s_endpgm
	.section	.rodata,"a",@progbits
	.p2align	6, 0x0
	.amdhsa_kernel fft_rtc_fwd_len1638_factors_13_2_3_7_3_wgs_182_tpt_182_halfLds_dp_op_CI_CI_unitstride_sbrr_R2C_dirReg
		.amdhsa_group_segment_fixed_size 0
		.amdhsa_private_segment_fixed_size 0
		.amdhsa_kernarg_size 104
		.amdhsa_user_sgpr_count 2
		.amdhsa_user_sgpr_dispatch_ptr 0
		.amdhsa_user_sgpr_queue_ptr 0
		.amdhsa_user_sgpr_kernarg_segment_ptr 1
		.amdhsa_user_sgpr_dispatch_id 0
		.amdhsa_user_sgpr_kernarg_preload_length 0
		.amdhsa_user_sgpr_kernarg_preload_offset 0
		.amdhsa_user_sgpr_private_segment_size 0
		.amdhsa_uses_dynamic_stack 0
		.amdhsa_enable_private_segment 0
		.amdhsa_system_sgpr_workgroup_id_x 1
		.amdhsa_system_sgpr_workgroup_id_y 0
		.amdhsa_system_sgpr_workgroup_id_z 0
		.amdhsa_system_sgpr_workgroup_info 0
		.amdhsa_system_vgpr_workitem_id 0
		.amdhsa_next_free_vgpr 266
		.amdhsa_next_free_sgpr 48
		.amdhsa_accum_offset 256
		.amdhsa_reserve_vcc 1
		.amdhsa_float_round_mode_32 0
		.amdhsa_float_round_mode_16_64 0
		.amdhsa_float_denorm_mode_32 3
		.amdhsa_float_denorm_mode_16_64 3
		.amdhsa_dx10_clamp 1
		.amdhsa_ieee_mode 1
		.amdhsa_fp16_overflow 0
		.amdhsa_tg_split 0
		.amdhsa_exception_fp_ieee_invalid_op 0
		.amdhsa_exception_fp_denorm_src 0
		.amdhsa_exception_fp_ieee_div_zero 0
		.amdhsa_exception_fp_ieee_overflow 0
		.amdhsa_exception_fp_ieee_underflow 0
		.amdhsa_exception_fp_ieee_inexact 0
		.amdhsa_exception_int_div_zero 0
	.end_amdhsa_kernel
	.text
.Lfunc_end0:
	.size	fft_rtc_fwd_len1638_factors_13_2_3_7_3_wgs_182_tpt_182_halfLds_dp_op_CI_CI_unitstride_sbrr_R2C_dirReg, .Lfunc_end0-fft_rtc_fwd_len1638_factors_13_2_3_7_3_wgs_182_tpt_182_halfLds_dp_op_CI_CI_unitstride_sbrr_R2C_dirReg
                                        ; -- End function
	.section	.AMDGPU.csdata,"",@progbits
; Kernel info:
; codeLenInByte = 12404
; NumSgprs: 54
; NumVgprs: 256
; NumAgprs: 10
; TotalNumVgprs: 266
; ScratchSize: 0
; MemoryBound: 0
; FloatMode: 240
; IeeeMode: 1
; LDSByteSize: 0 bytes/workgroup (compile time only)
; SGPRBlocks: 6
; VGPRBlocks: 33
; NumSGPRsForWavesPerEU: 54
; NumVGPRsForWavesPerEU: 266
; AccumOffset: 256
; Occupancy: 1
; WaveLimiterHint : 1
; COMPUTE_PGM_RSRC2:SCRATCH_EN: 0
; COMPUTE_PGM_RSRC2:USER_SGPR: 2
; COMPUTE_PGM_RSRC2:TRAP_HANDLER: 0
; COMPUTE_PGM_RSRC2:TGID_X_EN: 1
; COMPUTE_PGM_RSRC2:TGID_Y_EN: 0
; COMPUTE_PGM_RSRC2:TGID_Z_EN: 0
; COMPUTE_PGM_RSRC2:TIDIG_COMP_CNT: 0
; COMPUTE_PGM_RSRC3_GFX90A:ACCUM_OFFSET: 63
; COMPUTE_PGM_RSRC3_GFX90A:TG_SPLIT: 0
	.text
	.p2alignl 6, 3212836864
	.fill 256, 4, 3212836864
	.type	__hip_cuid_f120df33e0e9e8c0,@object ; @__hip_cuid_f120df33e0e9e8c0
	.section	.bss,"aw",@nobits
	.globl	__hip_cuid_f120df33e0e9e8c0
__hip_cuid_f120df33e0e9e8c0:
	.byte	0                               ; 0x0
	.size	__hip_cuid_f120df33e0e9e8c0, 1

	.ident	"AMD clang version 19.0.0git (https://github.com/RadeonOpenCompute/llvm-project roc-6.4.0 25133 c7fe45cf4b819c5991fe208aaa96edf142730f1d)"
	.section	".note.GNU-stack","",@progbits
	.addrsig
	.addrsig_sym __hip_cuid_f120df33e0e9e8c0
	.amdgpu_metadata
---
amdhsa.kernels:
  - .agpr_count:     10
    .args:
      - .actual_access:  read_only
        .address_space:  global
        .offset:         0
        .size:           8
        .value_kind:     global_buffer
      - .offset:         8
        .size:           8
        .value_kind:     by_value
      - .actual_access:  read_only
        .address_space:  global
        .offset:         16
        .size:           8
        .value_kind:     global_buffer
      - .actual_access:  read_only
        .address_space:  global
        .offset:         24
        .size:           8
        .value_kind:     global_buffer
      - .actual_access:  read_only
        .address_space:  global
        .offset:         32
        .size:           8
        .value_kind:     global_buffer
      - .offset:         40
        .size:           8
        .value_kind:     by_value
      - .actual_access:  read_only
        .address_space:  global
        .offset:         48
        .size:           8
        .value_kind:     global_buffer
      - .actual_access:  read_only
        .address_space:  global
        .offset:         56
        .size:           8
        .value_kind:     global_buffer
      - .offset:         64
        .size:           4
        .value_kind:     by_value
      - .actual_access:  read_only
        .address_space:  global
        .offset:         72
        .size:           8
        .value_kind:     global_buffer
      - .actual_access:  read_only
        .address_space:  global
        .offset:         80
        .size:           8
        .value_kind:     global_buffer
      - .actual_access:  read_only
        .address_space:  global
        .offset:         88
        .size:           8
        .value_kind:     global_buffer
      - .actual_access:  write_only
        .address_space:  global
        .offset:         96
        .size:           8
        .value_kind:     global_buffer
    .group_segment_fixed_size: 0
    .kernarg_segment_align: 8
    .kernarg_segment_size: 104
    .language:       OpenCL C
    .language_version:
      - 2
      - 0
    .max_flat_workgroup_size: 182
    .name:           fft_rtc_fwd_len1638_factors_13_2_3_7_3_wgs_182_tpt_182_halfLds_dp_op_CI_CI_unitstride_sbrr_R2C_dirReg
    .private_segment_fixed_size: 0
    .sgpr_count:     54
    .sgpr_spill_count: 0
    .symbol:         fft_rtc_fwd_len1638_factors_13_2_3_7_3_wgs_182_tpt_182_halfLds_dp_op_CI_CI_unitstride_sbrr_R2C_dirReg.kd
    .uniform_work_group_size: 1
    .uses_dynamic_stack: false
    .vgpr_count:     266
    .vgpr_spill_count: 0
    .wavefront_size: 64
amdhsa.target:   amdgcn-amd-amdhsa--gfx950
amdhsa.version:
  - 1
  - 2
...

	.end_amdgpu_metadata
